;; amdgpu-corpus repo=ROCm/rocFFT kind=compiled arch=gfx1100 opt=O3
	.text
	.amdgcn_target "amdgcn-amd-amdhsa--gfx1100"
	.amdhsa_code_object_version 6
	.protected	bluestein_single_back_len1122_dim1_half_op_CI_CI ; -- Begin function bluestein_single_back_len1122_dim1_half_op_CI_CI
	.globl	bluestein_single_back_len1122_dim1_half_op_CI_CI
	.p2align	8
	.type	bluestein_single_back_len1122_dim1_half_op_CI_CI,@function
bluestein_single_back_len1122_dim1_half_op_CI_CI: ; @bluestein_single_back_len1122_dim1_half_op_CI_CI
; %bb.0:
	s_load_b128 s[4:7], s[0:1], 0x28
	v_mul_u32_u24_e32 v1, 0x283, v0
	v_mov_b32_e32 v17, 0
	s_mov_b32 s2, exec_lo
	s_delay_alu instid0(VALU_DEP_2) | instskip(NEXT) | instid1(VALU_DEP_1)
	v_lshrrev_b32_e32 v1, 16, v1
	v_lshl_add_u32 v16, s15, 1, v1
	s_waitcnt lgkmcnt(0)
	s_delay_alu instid0(VALU_DEP_1)
	v_cmpx_gt_u64_e64 s[4:5], v[16:17]
	s_cbranch_execz .LBB0_23
; %bb.1:
	v_mul_lo_u16 v2, 0x66, v1
	s_clause 0x1
	s_load_b64 s[12:13], s[0:1], 0x0
	s_load_b64 s[14:15], s[0:1], 0x38
	v_and_b32_e32 v1, 1, v1
	v_sub_nc_u16 v0, v0, v2
	s_delay_alu instid0(VALU_DEP_2) | instskip(NEXT) | instid1(VALU_DEP_2)
	v_cmp_eq_u32_e32 vcc_lo, 1, v1
	v_and_b32_e32 v37, 0xffff, v0
	v_cndmask_b32_e64 v23, 0, 0x462, vcc_lo
	v_cmp_gt_u16_e32 vcc_lo, 0x42, v0
	s_delay_alu instid0(VALU_DEP_3) | instskip(NEXT) | instid1(VALU_DEP_3)
	v_lshlrev_b32_e32 v36, 2, v37
	v_lshlrev_b32_e32 v39, 2, v23
	s_and_saveexec_b32 s3, vcc_lo
	s_cbranch_execz .LBB0_3
; %bb.2:
	s_load_b64 s[4:5], s[0:1], 0x18
	s_waitcnt lgkmcnt(0)
	v_add_co_u32 v7, s2, s12, v36
	s_delay_alu instid0(VALU_DEP_1)
	v_add_co_ci_u32_e64 v8, null, s13, 0, s2
	s_load_b128 s[8:11], s[4:5], 0x0
	s_clause 0x6
	global_load_b32 v9, v36, s[12:13]
	global_load_b32 v10, v36, s[12:13] offset:264
	global_load_b32 v11, v36, s[12:13] offset:528
	;; [unrolled: 1-line block ×6, first 2 shown]
	s_waitcnt lgkmcnt(0)
	v_mad_u64_u32 v[0:1], null, s10, v16, 0
	v_mad_u64_u32 v[2:3], null, s8, v37, 0
	s_mul_i32 s4, s9, 0x108
	s_mul_hi_u32 s5, s8, 0x108
	s_delay_alu instid0(SALU_CYCLE_1) | instskip(NEXT) | instid1(VALU_DEP_1)
	s_add_i32 s5, s5, s4
	v_mad_u64_u32 v[4:5], null, s11, v16, v[1:2]
	s_delay_alu instid0(VALU_DEP_1)
	v_mad_u64_u32 v[5:6], null, s9, v37, v[3:4]
	v_mov_b32_e32 v1, v4
	v_add_co_u32 v4, s2, 0x1000, v7
	s_clause 0x7
	global_load_b32 v6, v36, s[12:13] offset:1848
	global_load_b32 v17, v36, s[12:13] offset:2112
	;; [unrolled: 1-line block ×8, first 2 shown]
	v_lshlrev_b64 v[0:1], 2, v[0:1]
	v_mov_b32_e32 v3, v5
	v_add_co_ci_u32_e64 v5, s2, 0, v8, s2
	s_delay_alu instid0(VALU_DEP_2) | instskip(NEXT) | instid1(VALU_DEP_4)
	v_lshlrev_b64 v[2:3], 2, v[2:3]
	v_add_co_u32 v0, s2, s6, v0
	s_delay_alu instid0(VALU_DEP_1) | instskip(SKIP_1) | instid1(VALU_DEP_2)
	v_add_co_ci_u32_e64 v1, s2, s7, v1, s2
	s_mul_i32 s6, s8, 0x108
	v_add_co_u32 v0, s2, v0, v2
	s_delay_alu instid0(VALU_DEP_1) | instskip(NEXT) | instid1(VALU_DEP_2)
	v_add_co_ci_u32_e64 v1, s2, v1, v3, s2
	v_add_co_u32 v2, s2, v0, s6
	s_delay_alu instid0(VALU_DEP_1) | instskip(SKIP_2) | instid1(VALU_DEP_1)
	v_add_co_ci_u32_e64 v3, s2, s5, v1, s2
	global_load_b32 v7, v[0:1], off
	v_add_co_u32 v0, s2, v2, s6
	v_add_co_ci_u32_e64 v1, s2, s5, v3, s2
	global_load_b32 v8, v36, s[12:13] offset:3960
	global_load_b32 v25, v[2:3], off
	global_load_b32 v4, v[4:5], off offset:128
	global_load_b32 v5, v[0:1], off
	v_add_co_u32 v0, s2, v0, s6
	s_delay_alu instid0(VALU_DEP_1) | instskip(NEXT) | instid1(VALU_DEP_2)
	v_add_co_ci_u32_e64 v1, s2, s5, v1, s2
	v_add_co_u32 v2, s2, v0, s6
	s_delay_alu instid0(VALU_DEP_1) | instskip(SKIP_4) | instid1(VALU_DEP_1)
	v_add_co_ci_u32_e64 v3, s2, s5, v1, s2
	s_clause 0x1
	global_load_b32 v26, v[0:1], off
	global_load_b32 v27, v[2:3], off
	v_add_co_u32 v0, s2, v2, s6
	v_add_co_ci_u32_e64 v1, s2, s5, v3, s2
	s_delay_alu instid0(VALU_DEP_2) | instskip(NEXT) | instid1(VALU_DEP_1)
	v_add_co_u32 v2, s2, v0, s6
	v_add_co_ci_u32_e64 v3, s2, s5, v1, s2
	global_load_b32 v28, v[0:1], off
	v_add_co_u32 v0, s2, v2, s6
	s_delay_alu instid0(VALU_DEP_1) | instskip(SKIP_3) | instid1(VALU_DEP_1)
	v_add_co_ci_u32_e64 v1, s2, s5, v3, s2
	global_load_b32 v29, v[2:3], off
	global_load_b32 v30, v[0:1], off
	v_add_co_u32 v0, s2, v0, s6
	v_add_co_ci_u32_e64 v1, s2, s5, v1, s2
	s_delay_alu instid0(VALU_DEP_2) | instskip(NEXT) | instid1(VALU_DEP_1)
	v_add_co_u32 v2, s2, v0, s6
	v_add_co_ci_u32_e64 v3, s2, s5, v1, s2
	global_load_b32 v31, v[0:1], off
	v_add_co_u32 v0, s2, v2, s6
	s_delay_alu instid0(VALU_DEP_1) | instskip(SKIP_3) | instid1(VALU_DEP_1)
	v_add_co_ci_u32_e64 v1, s2, s5, v3, s2
	global_load_b32 v32, v[2:3], off
	global_load_b32 v33, v[0:1], off
	v_add_co_u32 v0, s2, v0, s6
	v_add_co_ci_u32_e64 v1, s2, s5, v1, s2
	s_delay_alu instid0(VALU_DEP_2) | instskip(NEXT) | instid1(VALU_DEP_1)
	v_add_co_u32 v2, s2, v0, s6
	v_add_co_ci_u32_e64 v3, s2, s5, v1, s2
	global_load_b32 v34, v[0:1], off
	v_add_co_u32 v0, s2, v2, s6
	s_delay_alu instid0(VALU_DEP_1) | instskip(SKIP_2) | instid1(VALU_DEP_1)
	v_add_co_ci_u32_e64 v1, s2, s5, v3, s2
	global_load_b32 v35, v[2:3], off
	v_add_co_u32 v2, s2, v0, s6
	v_add_co_ci_u32_e64 v3, s2, s5, v1, s2
	global_load_b32 v38, v[0:1], off
	v_add_co_u32 v0, s2, v2, s6
	s_delay_alu instid0(VALU_DEP_1) | instskip(SKIP_2) | instid1(VALU_DEP_1)
	v_add_co_ci_u32_e64 v1, s2, s5, v3, s2
	global_load_b32 v40, v[2:3], off
	v_add_co_u32 v2, s2, v0, s6
	v_add_co_ci_u32_e64 v3, s2, s5, v1, s2
	global_load_b32 v0, v[0:1], off
	global_load_b32 v1, v[2:3], off
	v_lshl_add_u32 v3, v37, 2, v39
	v_add_nc_u32_e32 v2, v39, v36
	s_delay_alu instid0(VALU_DEP_1)
	v_add_nc_u32_e32 v42, 0x400, v2
	v_add_nc_u32_e32 v41, 0x200, v2
	;; [unrolled: 1-line block ×6, first 2 shown]
	s_waitcnt vmcnt(33)
	v_lshrrev_b32_e32 v47, 16, v9
	s_waitcnt vmcnt(32)
	v_lshrrev_b32_e32 v48, 16, v10
	;; [unrolled: 2-line block ×16, first 2 shown]
	v_mul_f16_e32 v63, v47, v7
	s_waitcnt vmcnt(17)
	v_lshrrev_b32_e32 v64, 16, v8
	s_waitcnt vmcnt(16)
	v_lshrrev_b32_e32 v65, 16, v25
	;; [unrolled: 2-line block ×3, first 2 shown]
	v_mul_f16_e32 v47, v47, v60
	v_fma_f16 v60, v9, v60, -v63
	v_mul_f16_e32 v63, v48, v25
	s_delay_alu instid0(VALU_DEP_3)
	v_fmac_f16_e32 v47, v9, v7
	v_mul_f16_e32 v7, v48, v65
	s_waitcnt vmcnt(14)
	v_lshrrev_b32_e32 v9, 16, v5
	v_mul_f16_e32 v48, v49, v5
	v_fma_f16 v63, v10, v65, -v63
	v_pack_b32_f16 v47, v47, v60
	v_fmac_f16_e32 v7, v10, v25
	v_mul_f16_e32 v10, v49, v9
	s_waitcnt vmcnt(13)
	v_lshrrev_b32_e32 v25, 16, v26
	v_fma_f16 v9, v11, v9, -v48
	v_mul_f16_e32 v48, v50, v26
	ds_store_b32 v3, v47
	v_pack_b32_f16 v3, v7, v63
	v_fmac_f16_e32 v10, v11, v5
	v_mul_f16_e32 v5, v50, v25
	s_waitcnt vmcnt(12)
	v_lshrrev_b32_e32 v7, 16, v27
	v_mul_f16_e32 v11, v51, v27
	v_fma_f16 v25, v12, v25, -v48
	v_pack_b32_f16 v9, v10, v9
	v_fmac_f16_e32 v5, v12, v26
	v_mul_f16_e32 v10, v51, v7
	v_fma_f16 v7, v13, v7, -v11
	s_waitcnt vmcnt(11)
	v_lshrrev_b32_e32 v11, 16, v28
	v_mul_f16_e32 v12, v52, v28
	ds_store_2addr_b32 v2, v3, v9 offset0:66 offset1:132
	v_pack_b32_f16 v3, v5, v25
	v_fmac_f16_e32 v10, v13, v27
	v_mul_f16_e32 v5, v52, v11
	s_waitcnt vmcnt(10)
	v_lshrrev_b32_e32 v9, 16, v29
	v_mul_f16_e32 v13, v53, v29
	v_fma_f16 v11, v14, v11, -v12
	v_pack_b32_f16 v7, v10, v7
	v_fmac_f16_e32 v5, v14, v28
	v_mul_f16_e32 v10, v53, v9
	s_waitcnt vmcnt(9)
	v_lshrrev_b32_e32 v12, 16, v30
	v_fma_f16 v9, v15, v9, -v13
	v_mul_f16_e32 v13, v54, v30
	ds_store_2addr_b32 v41, v3, v7 offset0:70 offset1:136
	v_pack_b32_f16 v3, v5, v11
	v_fmac_f16_e32 v10, v15, v29
	v_mul_f16_e32 v5, v54, v12
	s_waitcnt vmcnt(8)
	v_lshrrev_b32_e32 v7, 16, v31
	v_mul_f16_e32 v11, v55, v31
	v_fma_f16 v12, v6, v12, -v13
	v_pack_b32_f16 v9, v10, v9
	v_fmac_f16_e32 v5, v6, v30
	v_mul_f16_e32 v6, v55, v7
	s_waitcnt vmcnt(7)
	v_lshrrev_b32_e32 v10, 16, v32
	v_fma_f16 v7, v17, v7, -v11
	v_mul_f16_e32 v11, v56, v32
	ds_store_2addr_b32 v42, v3, v9 offset0:74 offset1:140
	v_pack_b32_f16 v3, v5, v12
	v_fmac_f16_e32 v6, v17, v31
	v_mul_f16_e32 v5, v56, v10
	s_waitcnt vmcnt(6)
	v_lshrrev_b32_e32 v9, 16, v33
	v_fma_f16 v10, v18, v10, -v11
	v_mul_f16_e32 v11, v57, v33
	v_pack_b32_f16 v6, v6, v7
	v_fmac_f16_e32 v5, v18, v32
	v_mul_f16_e32 v7, v57, v9
	s_waitcnt vmcnt(5)
	v_lshrrev_b32_e32 v12, 16, v34
	v_mul_f16_e32 v13, v58, v34
	v_fma_f16 v9, v19, v9, -v11
	v_pack_b32_f16 v5, v5, v10
	v_fmac_f16_e32 v7, v19, v33
	v_mul_f16_e32 v10, v58, v12
	v_fma_f16 v11, v20, v12, -v13
	s_waitcnt vmcnt(4)
	v_lshrrev_b32_e32 v12, 16, v35
	v_mul_f16_e32 v13, v59, v35
	v_pack_b32_f16 v7, v7, v9
	v_fmac_f16_e32 v10, v20, v34
	s_waitcnt vmcnt(3)
	v_lshrrev_b32_e32 v9, 16, v38
	v_mul_f16_e32 v14, v59, v12
	v_fma_f16 v12, v21, v12, -v13
	v_mul_f16_e32 v13, v61, v38
	s_waitcnt vmcnt(2)
	v_lshrrev_b32_e32 v15, 16, v40
	v_pack_b32_f16 v10, v10, v11
	v_mul_f16_e32 v11, v61, v9
	s_waitcnt vmcnt(1)
	v_lshrrev_b32_e32 v17, 16, v0
	v_fma_f16 v9, v22, v9, -v13
	v_mul_f16_e32 v13, v62, v40
	s_waitcnt vmcnt(0)
	v_lshrrev_b32_e32 v19, 16, v1
	v_mul_f16_e32 v18, v62, v15
	v_fmac_f16_e32 v14, v21, v35
	v_fmac_f16_e32 v11, v22, v38
	v_fma_f16 v13, v24, v15, -v13
	v_mul_f16_e32 v15, v64, v0
	v_mul_f16_e32 v20, v64, v17
	;; [unrolled: 1-line block ×4, first 2 shown]
	v_fmac_f16_e32 v18, v24, v40
	v_fma_f16 v15, v8, v17, -v15
	v_fmac_f16_e32 v20, v8, v0
	v_fma_f16 v0, v4, v19, -v21
	v_fmac_f16_e32 v22, v4, v1
	v_pack_b32_f16 v1, v14, v12
	v_pack_b32_f16 v4, v11, v9
	;; [unrolled: 1-line block ×5, first 2 shown]
	v_add_nc_u32_e32 v2, 0xe00, v2
	ds_store_2addr_b32 v43, v3, v6 offset0:78 offset1:144
	ds_store_2addr_b32 v44, v5, v7 offset0:82 offset1:148
	;; [unrolled: 1-line block ×5, first 2 shown]
.LBB0_3:
	s_or_b32 exec_lo, exec_lo, s3
	s_clause 0x1
	s_load_b64 s[4:5], s[0:1], 0x20
	s_load_b64 s[2:3], s[0:1], 0x8
	v_mov_b32_e32 v6, 0
	s_waitcnt lgkmcnt(0)
	s_barrier
	buffer_gl0_inv
                                        ; implicit-def: $vgpr21
                                        ; implicit-def: $vgpr1
                                        ; implicit-def: $vgpr3
                                        ; implicit-def: $vgpr5
                                        ; implicit-def: $vgpr9
                                        ; implicit-def: $vgpr11
                                        ; implicit-def: $vgpr13
                                        ; implicit-def: $vgpr15
                                        ; implicit-def: $vgpr64
	s_and_saveexec_b32 s0, vcc_lo
	s_cbranch_execz .LBB0_5
; %bb.4:
	v_lshl_add_u32 v17, v23, 2, v36
	s_delay_alu instid0(VALU_DEP_1)
	v_add_nc_u32_e32 v0, 0x400, v17
	v_add_nc_u32_e32 v1, 0x800, v17
	;; [unrolled: 1-line block ×3, first 2 shown]
	ds_load_2addr_b32 v[6:7], v17 offset1:66
	ds_load_2addr_b32 v[14:15], v17 offset0:132 offset1:198
	ds_load_2addr_b32 v[12:13], v0 offset0:8 offset1:74
	;; [unrolled: 1-line block ×7, first 2 shown]
	ds_load_b32 v21, v17 offset:4224
	s_waitcnt lgkmcnt(7)
	v_alignbit_b32 v64, v14, v14, 16
.LBB0_5:
	s_or_b32 exec_lo, exec_lo, s0
	s_waitcnt lgkmcnt(0)
	v_pk_add_f16 v25, v7, v21 neg_lo:[0,1] neg_hi:[0,1]
	s_delay_alu instid0(VALU_DEP_2)
	v_pk_add_f16 v27, v64, v1 op_sel:[1,0] op_sel_hi:[0,1] neg_lo:[0,1] neg_hi:[0,1]
	v_pk_add_f16 v14, v21, v7
	v_pk_add_f16 v22, v1, v64 op_sel:[1,0] op_sel_hi:[0,1]
	v_pk_add_f16 v29, v15, v0 neg_lo:[0,1] neg_hi:[0,1]
	v_lshrrev_b32_e32 v43, 16, v25
	v_lshrrev_b32_e32 v44, 16, v27
	v_pk_add_f16 v31, v12, v3 neg_lo:[0,1] neg_hi:[0,1]
	v_lshrrev_b32_e32 v71, 16, v22
	v_lshrrev_b32_e32 v45, 16, v29
	v_mul_f16_e32 v55, 0xbb29, v43
	v_mul_f16_e32 v58, 0xbbf7, v43
	;; [unrolled: 1-line block ×5, first 2 shown]
	v_fmamk_f16 v17, v14, 0x3722, v55
	v_fmamk_f16 v18, v14, 0x2de8, v58
	;; [unrolled: 1-line block ×3, first 2 shown]
	v_mul_f16_e32 v67, 0x3836, v44
	v_pk_add_f16 v26, v0, v15
	v_add_f16_e32 v17, v17, v6
	v_add_f16_e32 v18, v18, v6
	v_fmamk_f16 v20, v71, 0xb8d2, v56
	v_fmamk_f16 v28, v71, 0xbbdd, v61
	v_mul_f16_e32 v59, 0x31e1, v45
	v_lshrrev_b32_e32 v46, 16, v31
	v_add_f16_e32 v19, v19, v6
	v_fmamk_f16 v30, v71, 0xbacd, v67
	v_add_f16_e32 v17, v20, v17
	v_add_f16_e32 v18, v28, v18
	v_mul_f16_e32 v65, 0x3bb2, v45
	v_mul_f16_e32 v73, 0x3964, v45
	v_pk_add_f16 v28, v3, v12
	v_fmamk_f16 v20, v26, 0xbbdd, v59
	v_mul_f16_e32 v60, 0x3bb2, v46
	v_pk_add_f16 v33, v13, v2 neg_lo:[0,1] neg_hi:[0,1]
	v_add_f16_e32 v19, v30, v19
	v_fmamk_f16 v30, v26, 0xb461, v65
	v_fmamk_f16 v32, v26, 0x39e9, v73
	v_add_f16_e32 v17, v20, v17
	v_fmamk_f16 v20, v28, 0xb461, v60
	v_mul_f16_e32 v69, 0x35c8, v46
	v_mul_f16_e32 v77, 0xbb29, v46
	v_lshrrev_b32_e32 v47, 16, v33
	v_pk_add_f16 v38, v10, v5 neg_lo:[0,1] neg_hi:[0,1]
	v_pk_mul_f16 v24, 0x3b7639e9, v14
	v_add_f16_e32 v18, v30, v18
	v_add_f16_e32 v19, v32, v19
	v_pk_add_f16 v30, v2, v13
	v_add_f16_e32 v17, v20, v17
	v_fmamk_f16 v20, v28, 0x3b76, v69
	v_fmamk_f16 v32, v28, 0x3722, v77
	v_mul_f16_e32 v66, 0x3964, v47
	v_lshrrev_b32_e32 v98, 16, v38
	v_mul_f16_e32 v75, 0xbb29, v47
	v_pk_mul_f16 v35, 0xbbf7b964, v27
	v_pk_fma_f16 v34, 0xb964b5c8, v25, v24 op_sel:[0,0,1] op_sel_hi:[1,1,0]
	v_add_f16_e32 v18, v20, v18
	v_add_f16_e32 v19, v32, v19
	v_fmamk_f16 v20, v30, 0x39e9, v66
	v_mul_f16_e32 v79, 0xb1e1, v47
	v_pk_add_f16 v32, v5, v10
	v_mul_f16_e32 v62, 0xb5c8, v98
	v_fmamk_f16 v50, v30, 0x3722, v75
	v_pk_fma_f16 v41, 0x2de839e9, v22, v35
	v_pk_mul_f16 v40, 0x3722b8d2, v26
	v_add_f16_e32 v17, v20, v17
	v_fmamk_f16 v20, v30, 0xbbdd, v79
	v_fmamk_f16 v51, v32, 0x3b76, v62
	v_add_f16_e32 v18, v50, v18
	v_lshrrev_b32_e32 v50, 16, v34
	v_pk_add_f16 v52, v11, v4 neg_lo:[0,1] neg_hi:[0,1]
	v_pk_fma_f16 v49, 0xba62bb29, v29, v40 op_sel:[0,0,1] op_sel_hi:[1,1,0]
	v_pk_mul_f16 v42, 0x2de8bbdd, v28
	v_add_f16_e32 v19, v20, v19
	v_add_f16_e32 v17, v51, v17
	;; [unrolled: 1-line block ×3, first 2 shown]
	v_lshrrev_b32_e32 v51, 16, v41
	v_mul_f16_e32 v80, 0xb836, v98
	v_lshrrev_b32_e32 v102, 16, v52
	v_pk_fma_f16 v54, 0xb1e1bbf7, v31, v42 op_sel:[0,0,1] op_sel_hi:[1,1,0]
	v_pk_mul_f16 v92, 0xb461bacd, v30
	v_pk_add_f16 v50, v4, v11
	v_add_f16_e32 v20, v51, v20
	v_lshrrev_b32_e32 v51, 16, v49
	v_fmamk_f16 v53, v32, 0xbacd, v80
	v_mul_f16_e32 v74, 0xbbf7, v102
	v_pk_fma_f16 v57, 0x3836bbb2, v33, v92 op_sel:[0,0,1] op_sel_hi:[1,1,0]
	v_pk_mul_f16 v114, 0xb8d2b461, v32
	v_mul_f16_e32 v88, 0x3bf7, v98
	v_add_f16_e32 v20, v51, v20
	v_lshrrev_b32_e32 v51, 16, v54
	v_add_f16_e32 v18, v53, v18
	v_fmamk_f16 v53, v50, 0x2de8, v74
	v_pk_fma_f16 v68, 0x3bb2ba62, v38, v114 op_sel:[0,0,1] op_sel_hi:[1,1,0]
	v_fmamk_f16 v70, v32, 0x2de8, v88
	v_pk_mul_f16 v116, 0xbacd3722, v50
	v_add_f16_e32 v20, v51, v20
	v_lshrrev_b32_e32 v72, 16, v57
	v_add_f16_e32 v17, v53, v17
	v_pk_add_f16 v53, v9, v8
	v_pk_add_f16 v51, v8, v9 neg_lo:[0,1] neg_hi:[0,1]
	v_add_f16_e32 v19, v70, v19
	v_pk_fma_f16 v70, 0x3b29b836, v52, v116 op_sel:[0,0,1] op_sel_hi:[1,1,0]
	v_mul_f16_e32 v82, 0x3a62, v102
	v_add_f16_e32 v20, v72, v20
	v_lshrrev_b32_e32 v72, 16, v68
	v_pk_mul_f16 v118, 0xbbdd3b76, v53
	v_lshrrev_b32_e32 v155, 16, v51
	v_fmamk_f16 v78, v50, 0xb8d2, v82
	v_mul_f16_e32 v89, 0xb5c8, v102
	v_add_f16_e32 v20, v72, v20
	v_lshrrev_b32_e32 v81, 16, v70
	v_pk_fma_f16 v72, 0x35c8b1e1, v51, v118 op_sel:[0,0,1] op_sel_hi:[1,1,0]
	v_mul_f16_e64 v76, 0xb836, v155
	v_add_f16_e32 v78, v78, v18
	v_fmamk_f16 v18, v50, 0x3b76, v89
	v_add_f16_e32 v20, v81, v20
	v_lshrrev_b32_e32 v81, 16, v72
	v_fmamk_f16 v84, v53, 0xbacd, v76
	v_mul_f16_e64 v83, 0x3964, v155
	v_lshrrev_b32_e32 v127, 16, v14
	v_mul_f16_e32 v85, 0xb964, v25
	v_mul_f16_e32 v48, 0xb5c8, v43
	v_mul_f16_e64 v91, 0xba62, v155
	v_add_f16_e32 v19, v18, v19
	v_add_f16_e32 v18, v81, v20
	;; [unrolled: 1-line block ×3, first 2 shown]
	v_fmamk_f16 v20, v53, 0x39e9, v83
	v_lshrrev_b32_e32 v84, 16, v6
	v_fma_f16 v90, v127, 0x39e9, -v85
	v_mul_f16_e32 v86, 0xbbf7, v27
	v_fmamk_f16 v81, v53, 0xb8d2, v91
	v_fmamk_f16 v87, v14, 0x3b76, v48
	v_add_f16_e32 v20, v20, v78
	v_mul_f16_e32 v78, 0xb964, v44
	v_mul_f16_e32 v95, 0xbb29, v25
	v_add_f16_e32 v90, v90, v84
	v_fma_f16 v94, v22, 0x2de8, -v86
	v_mul_f16_e32 v123, 0xbbb2, v25
	v_add_f16_e32 v87, v87, v6
	v_fmamk_f16 v93, v71, 0x39e9, v78
	v_add_f16_e32 v19, v81, v19
	v_fma_f16 v81, v127, 0x3722, -v95
	v_mul_f16_e32 v105, 0xbbf7, v25
	v_add_f16_e32 v90, v94, v90
	v_mul_f16_e32 v96, 0xba62, v27
	v_fma_f16 v94, v127, 0xb461, -v123
	v_mul_f16_e32 v124, 0x3836, v27
	v_add_f16_e32 v87, v93, v87
	v_add_f16_e32 v81, v81, v84
	v_fma_f16 v93, v127, 0x2de8, -v105
	v_mul_f16_e32 v106, 0xb1e1, v27
	v_fma_f16 v97, v22, 0xb8d2, -v96
	v_add_f16_e32 v94, v94, v84
	v_fma_f16 v100, v22, 0xbacd, -v124
	v_mul_f16_e64 v132, 0xba62, v43
	v_mul_f16_e64 v139, 0xba62, v25
	v_add_f16_e32 v93, v93, v84
	v_fma_f16 v99, v22, 0xbbdd, -v106
	v_add_f16_e32 v43, v97, v81
	v_add_f16_e32 v97, v100, v94
	v_fma_f16 v94, 0xb8d2, v14, v132
	v_mul_f16_e64 v133, 0x3bb2, v44
	v_fma_f16 v44, v127, 0xb8d2, -v139
	v_mul_f16_e64 v140, 0x3bb2, v27
	v_mul_f16_e32 v81, 0xbb29, v45
	v_add_f16_e32 v93, v99, v93
	v_add_f16_e32 v99, v94, v6
	v_fma_f16 v100, 0xb461, v71, v133
	v_add_f16_e32 v44, v44, v84
	v_fma_f16 v103, v22, 0xb461, -v140
	v_fmamk_f16 v104, v26, 0x3722, v81
	v_lshrrev_b32_e32 v126, 16, v26
	v_mul_f16_e32 v94, 0xba62, v29
	v_mul_f16_e32 v101, 0x31e1, v29
	v_add_f16_e32 v99, v100, v99
	v_add_f16_e32 v44, v103, v44
	;; [unrolled: 1-line block ×3, first 2 shown]
	v_fma_f16 v87, v126, 0xb8d2, -v94
	v_fma_f16 v103, v126, 0xbbdd, -v101
	v_mul_f16_e32 v117, 0x3bb2, v29
	v_mul_f16_e64 v128, 0x3964, v29
	v_mul_f16_e64 v137, 0xb5c8, v45
	v_add_f16_e32 v45, v87, v90
	v_add_f16_e32 v43, v103, v43
	v_fma_f16 v90, v126, 0xb461, -v117
	v_fma_f16 v103, v126, 0x39e9, -v128
	v_mul_f16_e32 v87, 0xbbf7, v46
	v_fma_f16 v104, 0x3b76, v26, v137
	v_mul_f16_e64 v145, 0xb5c8, v29
	v_add_f16_e32 v90, v90, v93
	v_add_f16_e32 v93, v103, v97
	v_fmamk_f16 v107, v28, 0x2de8, v87
	v_lshrrev_b32_e32 v130, 16, v28
	v_mul_f16_e32 v103, 0x3bb2, v31
	v_add_f16_e32 v104, v104, v99
	v_fma_f16 v97, v126, 0x3b76, -v145
	v_mul_f16_e32 v99, 0xb1e1, v31
	v_add_f16_e32 v100, v107, v100
	v_fma_f16 v107, v130, 0xb461, -v103
	v_mul_f16_e64 v134, 0xbb29, v31
	v_mul_f16_e32 v119, 0x35c8, v31
	v_add_f16_e32 v44, v97, v44
	v_fma_f16 v97, v130, 0xbbdd, -v99
	v_add_f16_e32 v43, v107, v43
	v_fma_f16 v107, v130, 0x3722, -v134
	v_mul_f16_e64 v148, 0xb836, v31
	v_fma_f16 v108, v130, 0x3b76, -v119
	v_mul_f16_e64 v143, 0xb836, v46
	v_add_f16_e32 v45, v97, v45
	v_lshrrev_b32_e32 v131, 16, v30
	v_mul_f16_e32 v97, 0x3836, v33
	v_add_f16_e32 v109, v107, v93
	v_fma_f16 v93, v130, 0xbacd, -v148
	v_mul_f16_e32 v107, 0x3964, v33
	v_add_f16_e32 v46, v108, v90
	v_fma_f16 v108, 0xbacd, v28, v143
	v_mul_f16_e32 v90, 0xbbb2, v47
	v_fma_f16 v110, v131, 0xbacd, -v97
	v_add_f16_e32 v44, v93, v44
	v_fma_f16 v93, v131, 0x39e9, -v107
	v_mul_f16_e64 v138, 0xb1e1, v33
	v_mul_f16_e64 v147, 0x3bf7, v47
	v_add_f16_e32 v104, v108, v104
	v_fmamk_f16 v108, v30, 0xb461, v90
	v_mul_f16_e32 v122, 0xbb29, v33
	v_add_f16_e32 v45, v110, v45
	v_mul_f16_e64 v149, 0x3bf7, v33
	v_add_f16_e32 v43, v93, v43
	v_fma_f16 v47, v131, 0xbbdd, -v138
	v_fma_f16 v110, 0x2de8, v30, v147
	v_mul_f16_e32 v93, 0xba62, v98
	v_add_f16_e32 v108, v108, v100
	v_fma_f16 v100, v131, 0x3722, -v122
	v_fma_f16 v111, v131, 0x2de8, -v149
	v_lshrrev_b32_e32 v135, 16, v32
	v_add_f16_e32 v47, v47, v109
	v_add_f16_e32 v109, v110, v104
	v_fmamk_f16 v104, v32, 0xb8d2, v93
	v_mul_f16_e32 v125, 0xb836, v38
	v_add_f16_e32 v46, v100, v46
	v_add_f16_e32 v44, v111, v44
	v_mul_f16_e64 v150, 0xb964, v98
	v_add_f16_e32 v111, v104, v108
	v_fma_f16 v108, v135, 0xbacd, -v125
	v_mul_f16_e32 v100, 0x3bb2, v38
	v_mul_f16_e32 v98, 0xb836, v102
	;; [unrolled: 1-line block ×3, first 2 shown]
	v_mul_f16_e64 v142, 0x3bf7, v38
	v_add_f16_e32 v46, v108, v46
	v_fma_f16 v108, 0x39e9, v32, v150
	v_fma_f16 v110, v135, 0xb461, -v100
	v_lshrrev_b32_e32 v136, 16, v50
	v_mul_f16_e64 v129, 0x3a62, v52
	v_fma_f16 v104, v135, 0x3b76, -v112
	v_add_f16_e32 v113, v108, v109
	v_fmamk_f16 v109, v50, 0xbacd, v98
	v_add_f16_e32 v45, v110, v45
	v_fma_f16 v110, v135, 0x2de8, -v142
	v_mul_f16_e64 v153, 0xb964, v38
	v_add_f16_e32 v43, v104, v43
	v_add_f16_e64 v141, v109, v111
	v_fma_f16 v109, v136, 0xb8d2, -v129
	v_add_f16_e32 v47, v110, v47
	v_fma_f16 v110, v135, 0x39e9, -v153
	v_mul_f16_e32 v104, 0x3b29, v52
	v_mul_f16_e32 v108, 0xbbf7, v52
	v_add_f16_e32 v46, v109, v46
	v_pk_fma_f16 v109, 0xb964b5c8, v25, v24 op_sel:[0,0,1] op_sel_hi:[1,1,0] neg_lo:[0,1,0] neg_hi:[0,1,0]
	v_add_f16_e32 v44, v110, v44
	v_fma_f16 v110, v136, 0x3722, -v104
	v_mul_f16_e64 v146, 0xb5c8, v52
	v_fma_f16 v115, v136, 0x2de8, -v108
	v_pk_fma_f16 v111, 0x2de839e9, v22, v35 neg_lo:[0,0,1] neg_hi:[0,0,1]
	v_add_f16_e32 v35, v109, v84
	v_add_f16_e32 v45, v110, v45
	v_fma_f16 v110, v136, 0x3b76, -v146
	v_add_f16_e64 v151, v115, v43
	v_mul_f16_e64 v152, 0xb1e1, v102
	v_pk_fma_f16 v115, 0xba62bb29, v29, v40 op_sel:[0,0,1] op_sel_hi:[1,1,0] neg_lo:[0,1,0] neg_hi:[0,1,0]
	v_add_f16_e32 v35, v111, v35
	v_mul_f16_e64 v154, 0xb1e1, v52
	v_add_f16_e32 v47, v110, v47
	v_fma_f16 v24, 0xbbdd, v50, v152
	v_pk_fma_f16 v110, 0xb1e1bbf7, v31, v42 op_sel:[0,0,1] op_sel_hi:[1,1,0] neg_lo:[0,1,0] neg_hi:[0,1,0]
	v_add_f16_e32 v35, v115, v35
	v_fma_f16 v43, v136, 0xbbdd, -v154
	v_mul_f16_e64 v102, 0xb1e1, v155
	v_add_f16_e32 v24, v24, v113
	v_lshrrev_b32_e32 v144, 16, v53
	v_mul_f16_e32 v121, 0xb836, v51
	v_pk_fma_f16 v113, 0x3836bbb2, v33, v92 op_sel:[0,0,1] op_sel_hi:[1,1,0] neg_lo:[0,1,0] neg_hi:[0,1,0]
	v_add_f16_e32 v35, v110, v35
	v_add_f16_e64 v157, v43, v44
	v_fmamk_f16 v43, v53, 0xbbdd, v102
	v_mul_f16_e32 v120, 0x35c8, v51
	v_fma_f16 v44, v144, 0xbacd, -v121
	v_pk_fma_f16 v114, 0x3bb2ba62, v38, v114 op_sel:[0,0,1] op_sel_hi:[1,1,0] neg_lo:[0,1,0] neg_hi:[0,1,0]
	v_add_f16_e32 v35, v113, v35
	v_add_f16_e64 v42, v43, v141
	v_fma_f16 v40, v144, 0x3b76, -v120
	v_mul_f16_e64 v141, 0x3964, v51
	v_add_f16_e64 v44, v44, v151
	v_mul_f16_e64 v151, 0xba62, v51
	v_mul_f16_e64 v156, 0x3b29, v51
	v_pk_fma_f16 v116, 0x3b29b836, v52, v116 op_sel:[0,0,1] op_sel_hi:[1,1,0] neg_lo:[0,1,0] neg_hi:[0,1,0]
	v_add_f16_e32 v35, v114, v35
	v_mul_f16_e64 v155, 0x3b29, v155
	v_add_f16_e32 v43, v40, v45
	v_fma_f16 v40, v144, 0x39e9, -v141
	v_fma_f16 v45, v144, 0xb8d2, -v151
	;; [unrolled: 1-line block ×3, first 2 shown]
	v_pk_fma_f16 v118, 0x35c8b1e1, v51, v118 op_sel:[0,0,1] op_sel_hi:[1,1,0] neg_lo:[0,1,0] neg_hi:[0,1,0]
	v_add_f16_e64 v158, v116, v35
	v_fma_f16 v159, 0x3722, v53, v155
	v_add_f16_e32 v46, v40, v46
	v_add_f16_e32 v47, v45, v47
	v_add_f16_e64 v35, v92, v157
	v_add_f16_e64 v45, v118, v158
	;; [unrolled: 1-line block ×3, first 2 shown]
	v_mul_lo_u16 v40, v37, 17
	s_barrier
	buffer_gl0_inv
	s_and_saveexec_b32 s0, vcc_lo
	s_cbranch_execz .LBB0_7
; %bb.6:
	v_mul_f16_e64 v157, 0xb8d2, v127
	v_mul_f16_e64 v160, 0xb461, v22
	;; [unrolled: 1-line block ×5, first 2 shown]
	v_add_f16_e64 v139, v139, v157
	v_add_f16_e64 v140, v140, v160
	v_mul_f16_e64 v160, 0x3b76, v126
	v_mul_f16_e32 v127, 0xb461, v127
	v_mul_f16_e64 v164, 0xb461, v14
	v_add_f16_e64 v139, v139, v84
	v_mul_f16_e64 v165, 0x39e9, v71
	v_mul_f16_e64 v162, 0x2de8, v14
	v_add_f16_e32 v123, v123, v127
	v_sub_f16_e64 v63, v164, v63
	v_add_f16_e64 v139, v140, v139
	v_add_f16_e64 v140, v145, v160
	v_mul_f16_e64 v160, 0xb8d2, v14
	v_mul_f16_e64 v145, 0xbacd, v130
	v_add_f16_e32 v123, v123, v84
	v_add_f16_e32 v63, v63, v6
	v_add_f16_e64 v139, v140, v139
	v_sub_f16_e64 v132, v160, v132
	v_mul_f16_e64 v160, 0xb461, v71
	v_add_f16_e64 v140, v148, v145
	v_mul_f16_e64 v148, 0x2de8, v131
	v_add_f16_e64 v105, v105, v163
	v_add_f16_e64 v132, v132, v6
	v_sub_f16_e64 v133, v160, v133
	v_mul_f16_e64 v160, 0x3b76, v26
	v_add_f16_e64 v139, v140, v139
	v_add_f16_e64 v148, v149, v148
	v_mul_f16_e64 v140, 0xb8d2, v71
	v_add_f16_e64 v132, v133, v132
	v_sub_f16_e64 v137, v160, v137
	v_mul_f16_e64 v160, 0xbacd, v28
	v_add_f16_e64 v139, v148, v139
	v_mul_f16_e64 v148, 0x39e9, v135
	v_mul_f16_e64 v133, 0xbbdd, v71
	v_add_f16_e64 v132, v137, v132
	v_sub_f16_e64 v143, v160, v143
	v_mul_f16_e64 v160, 0x2de8, v30
	v_add_f16_e64 v148, v153, v148
	v_mul_f16_e64 v137, 0xbbdd, v136
	v_mul_f16_e32 v71, 0xbacd, v71
	v_add_f16_e64 v132, v143, v132
	v_sub_f16_e64 v143, v160, v147
	v_add_f16_e64 v139, v148, v139
	v_mul_f16_e64 v148, 0xbacd, v22
	v_add_f16_e64 v137, v154, v137
	v_mul_f16_e64 v160, 0x39e9, v32
	v_add_f16_e64 v132, v143, v132
	v_mul_f16_e64 v143, 0x3722, v144
	v_mul_f16_e64 v147, 0xb8d2, v126
	v_add_f16_e64 v137, v137, v139
	v_sub_f16_e64 v150, v160, v150
	v_mul_f16_e64 v160, 0xbbdd, v126
	v_add_f16_e64 v143, v156, v143
	v_mul_f16_e64 v156, 0xb461, v126
	v_add_f16_e64 v124, v124, v148
	v_mul_f16_e32 v126, 0x39e9, v126
	v_add_f16_e64 v132, v150, v132
	v_mul_f16_e64 v150, 0xbbdd, v50
	v_add_f16_e64 v137, v143, v137
	v_add_f16_e32 v123, v124, v123
	v_add_f16_e64 v126, v128, v126
	v_mul_f16_e64 v143, 0x3722, v130
	v_mul_f16_e64 v148, 0x39e9, v26
	v_sub_f16_e64 v150, v150, v152
	v_sub_f16_e32 v67, v71, v67
	v_add_f16_e32 v123, v126, v123
	v_add_f16_e64 v134, v134, v143
	v_mul_f16_e64 v153, 0xbbdd, v22
	v_add_f16_e64 v132, v150, v132
	v_mul_f16_e64 v150, 0x3722, v53
	v_add_f16_e32 v63, v67, v63
	v_add_f16_e64 v123, v134, v123
	v_mul_f16_e64 v134, 0x3722, v28
	v_sub_f16_e64 v73, v148, v73
	v_mul_f16_e64 v143, 0xbbdd, v131
	v_sub_f16_e64 v150, v150, v155
	;; [unrolled: 2-line block ×3, first 2 shown]
	v_add_f16_e32 v63, v73, v63
	v_add_f16_e64 v106, v106, v153
	v_add_f16_e32 v105, v105, v84
	v_sub_f16_e64 v58, v162, v58
	v_mul_f16_e32 v127, 0xb461, v26
	v_mul_f16_e64 v124, 0xbbdd, v130
	v_mul_f16_e64 v126, 0xb461, v130
	;; [unrolled: 1-line block ×3, first 2 shown]
	v_add_f16_e64 v138, v138, v143
	v_add_f16_e64 v132, v150, v132
	v_mul_f16_e64 v150, 0x2de8, v135
	v_add_f16_e32 v63, v77, v63
	v_mul_f16_e32 v77, 0x2de8, v32
	v_sub_f16_e64 v79, v148, v79
	v_add_f16_e32 v105, v106, v105
	v_add_f16_e64 v117, v117, v156
	v_add_f16_e32 v58, v58, v6
	v_sub_f16_e64 v61, v133, v61
	v_mul_f16_e64 v155, 0x3b76, v28
	v_mul_f16_e64 v164, 0xbacd, v131
	v_add_f16_e64 v123, v138, v123
	v_mul_f16_e64 v71, 0x39e9, v131
	v_add_f16_e64 v142, v142, v150
	v_mul_f16_e64 v131, 0x3722, v131
	v_mul_f16_e64 v67, 0x3b76, v136
	v_add_f16_e32 v63, v79, v63
	v_mul_f16_e64 v156, 0x3b76, v50
	v_sub_f16_e32 v77, v77, v88
	v_add_f16_e32 v105, v117, v105
	v_add_f16_e64 v119, v119, v130
	v_add_f16_e32 v58, v61, v58
	v_sub_f16_e32 v65, v127, v65
	v_mul_f16_e64 v150, 0x3722, v30
	v_add_f16_e64 v123, v142, v123
	v_add_f16_e64 v67, v146, v67
	v_mul_f16_e64 v146, 0xb461, v135
	v_mul_f16_e64 v134, 0x3b76, v135
	;; [unrolled: 1-line block ×3, first 2 shown]
	v_add_f16_e32 v63, v77, v63
	v_sub_f16_e64 v77, v156, v89
	v_add_f16_e32 v89, v119, v105
	v_add_f16_e64 v105, v122, v131
	v_add_f16_e32 v58, v65, v58
	v_sub_f16_e64 v65, v155, v69
	v_mul_f16_e64 v149, 0xb8d2, v22
	v_add_f16_e32 v67, v67, v123
	v_mul_f16_e32 v123, 0xbacd, v32
	v_mul_f16_e64 v153, 0x3722, v136
	v_mul_f16_e64 v79, 0x2de8, v136
	v_mul_f16_e64 v136, 0xb8d2, v136
	v_add_f16_e32 v63, v77, v63
	v_add_f16_e32 v69, v105, v89
	v_add_f16_e64 v77, v125, v135
	v_add_f16_e32 v58, v65, v58
	v_sub_f16_e64 v65, v150, v75
	v_add_f16_e64 v75, v95, v161
	v_mul_f16_e64 v157, 0x3722, v14
	v_mul_f16_e64 v163, 0xb8d2, v144
	v_mul_f16_e32 v106, 0xb8d2, v50
	v_mul_f16_e64 v88, 0x3b76, v144
	v_mul_f16_e64 v133, 0xbacd, v144
	;; [unrolled: 1-line block ×3, first 2 shown]
	v_mul_f16_e32 v61, 0xb8d2, v53
	v_add_f16_e32 v69, v77, v69
	v_add_f16_e64 v77, v129, v136
	v_add_f16_e32 v58, v65, v58
	v_sub_f16_e32 v65, v123, v80
	v_add_f16_e32 v75, v75, v84
	v_add_f16_e64 v80, v96, v149
	v_sub_f16_e32 v61, v61, v91
	v_add_f16_e32 v69, v77, v69
	v_add_f16_e64 v77, v141, v144
	v_add_f16_e32 v58, v65, v58
	v_sub_f16_e32 v65, v106, v82
	v_add_f16_e32 v75, v80, v75
	v_add_f16_e64 v80, v101, v160
	v_sub_f16_e64 v55, v157, v55
	v_alignbit_b32 v92, v6, v6, 16
	v_mul_f16_e64 v145, 0x2de8, v22
	v_mul_f16_e64 v139, 0xbbdd, v26
	v_add_f16_e32 v61, v61, v63
	v_add_f16_e32 v63, v77, v69
	;; [unrolled: 1-line block ×6, first 2 shown]
	v_sub_f16_e64 v56, v140, v56
	v_add_f16_e64 v77, v85, v159
	v_alignbit_b32 v64, v64, v64, 16
	v_mul_f16_e64 v128, 0xb461, v28
	v_add_f16_e32 v65, v69, v65
	v_add_f16_e32 v69, v107, v71
	;; [unrolled: 1-line block ×3, first 2 shown]
	v_sub_f16_e64 v56, v139, v59
	v_add_f16_e32 v59, v77, v84
	v_add_f16_e64 v71, v86, v145
	v_pk_add_f16 v7, v7, v92 op_sel:[0,1] op_sel_hi:[1,0]
	v_mul_f16_e64 v138, 0x39e9, v30
	v_add_f16_e32 v55, v56, v55
	v_sub_f16_e64 v56, v128, v60
	v_add_f16_e32 v59, v71, v59
	v_add_f16_e64 v60, v94, v147
	v_pk_add_f16 v7, v64, v7
	v_mul_f16_e32 v73, 0x3b76, v32
	v_add_f16_e32 v55, v56, v55
	v_sub_f16_e64 v56, v138, v66
	v_add_f16_e32 v59, v60, v59
	v_add_f16_e32 v60, v99, v124
	v_pk_add_f16 v7, v15, v7
	v_add_f16_e64 v151, v151, v163
	v_mul_f16_e64 v163, 0x2de8, v50
	v_add_f16_e32 v55, v56, v55
	v_sub_f16_e32 v56, v73, v62
	v_add_f16_e32 v59, v60, v59
	v_add_f16_e64 v60, v97, v164
	v_pk_add_f16 v7, v12, v7
	v_mul_f16_e64 v158, 0x3b76, v14
	v_add_f16_e32 v55, v56, v55
	v_sub_f16_e64 v56, v163, v74
	v_add_f16_e32 v15, v60, v59
	v_add_f16_e64 v59, v100, v146
	v_pk_add_f16 v7, v13, v7
	v_sub_f16_e64 v48, v158, v48
	v_add_f16_e32 v12, v56, v55
	v_add_f16_e64 v55, v104, v153
	v_add_f16_e32 v15, v59, v15
	v_pk_add_f16 v7, v10, v7
	v_mul_f16_e64 v154, 0x3722, v26
	v_add_f16_e32 v6, v48, v6
	v_sub_f16_e64 v13, v165, v78
	v_add_f16_e32 v15, v55, v15
	v_add_f16_e32 v55, v120, v88
	v_pk_add_f16 v7, v11, v7
	v_mul_f16_e64 v152, 0x2de8, v28
	v_add_f16_e32 v6, v13, v6
	v_sub_f16_e64 v10, v154, v81
	v_add_f16_e32 v11, v55, v15
	v_bfi_b32 v15, 0xffff, v34, v109
	v_pk_add_f16 v7, v8, v7
	v_mul_f16_e64 v143, 0xb461, v30
	v_add_f16_e32 v6, v10, v6
	v_sub_f16_e64 v10, v152, v87
	v_bfi_b32 v8, 0xffff, v41, v111
	v_pk_add_f16 v7, v9, v7
	v_pk_add_f16 v9, v15, v92
	v_mul_f16_e64 v142, 0xb8d2, v32
	v_bfi_b32 v34, 0xffff, v49, v115
	v_add_f16_e32 v6, v10, v6
	v_sub_f16_e64 v10, v143, v90
	v_pk_add_f16 v4, v4, v7
	v_pk_add_f16 v7, v8, v9
	v_mul_f16_e64 v148, 0xbacd, v50
	v_bfi_b32 v15, 0xffff, v54, v110
	v_add_f16_e32 v6, v10, v6
	v_sub_f16_e64 v8, v142, v93
	;; [unrolled: 6-line block ×3, first 2 shown]
	v_pk_add_f16 v2, v2, v4
	v_pk_add_f16 v4, v15, v5
	v_pk_mul_f16 v5, 0xbbdd, v14 op_sel_hi:[0,1]
	v_bfi_b32 v9, 0xffff, v68, v114
	v_add_f16_e32 v6, v7, v6
	v_sub_f16_e64 v7, v162, v102
	v_pk_add_f16 v2, v3, v2
	v_pk_add_f16 v3, v41, v4
	v_pk_fma_f16 v4, 0xb1e1, v25, v5 op_sel:[0,0,1] op_sel_hi:[0,1,0] neg_lo:[0,1,0] neg_hi:[0,1,0]
	v_pk_mul_f16 v15, 0x35c8, v27 op_sel_hi:[0,1]
	v_bfi_b32 v10, 0xffff, v70, v116
	v_add_f16_e32 v6, v7, v6
	v_pk_add_f16 v0, v0, v2
	v_pk_add_f16 v2, v9, v3
	v_pk_add_f16 v3, v4, v92
	v_pk_fma_f16 v4, 0x3b76, v22, v15 op_sel_hi:[0,1,1] neg_lo:[0,0,1] neg_hi:[0,0,1]
	v_pk_mul_f16 v7, 0xbacd, v26 op_sel_hi:[0,1]
	v_bfi_b32 v8, 0xffff, v72, v118
	v_pk_add_f16 v0, v1, v0
	v_pk_add_f16 v1, v10, v2
	;; [unrolled: 1-line block ×3, first 2 shown]
	v_pk_fma_f16 v3, 0xb836, v29, v7 op_sel:[0,0,1] op_sel_hi:[0,1,0] neg_lo:[0,1,0] neg_hi:[0,1,0]
	v_pk_mul_f16 v4, 0x39e9, v28 op_sel_hi:[0,1]
	v_add_f16_e32 v65, v69, v65
	v_add_f16_e64 v69, v112, v134
	v_pk_add_f16 v1, v8, v1
	v_pk_add_f16 v2, v3, v2
	v_pk_fma_f16 v3, 0x3964, v31, v4 op_sel:[0,0,1] op_sel_hi:[0,1,0] neg_lo:[0,1,0] neg_hi:[0,1,0]
	v_pk_mul_f16 v8, 0xb8d2, v30 op_sel_hi:[0,1]
	v_mul_f16_e32 v117, 0xbacd, v53
	v_add_f16_e32 v65, v69, v65
	v_add_f16_e32 v66, v108, v79
	v_alignbit_b32 v10, v11, v1, 16
	v_pack_b32_f16 v1, v6, v1
	v_pk_fma_f16 v5, 0xb1e1, v25, v5 op_sel:[0,0,1] op_sel_hi:[0,1,0]
	v_pk_add_f16 v2, v3, v2
	v_pk_fma_f16 v3, 0xba62, v33, v8 op_sel:[0,0,1] op_sel_hi:[0,1,0] neg_lo:[0,1,0] neg_hi:[0,1,0]
	v_pk_mul_f16 v6, 0x3722, v32 op_sel_hi:[0,1]
	v_add_f16_e32 v62, v66, v65
	v_add_f16_e64 v60, v121, v133
	v_sub_f16_e32 v48, v117, v76
	v_pk_add_f16 v0, v21, v0
	v_pk_add_f16 v5, v5, v92
	v_pk_fma_f16 v15, 0x3b76, v22, v15 op_sel_hi:[0,1,1]
	v_pk_add_f16 v2, v3, v2
	v_pk_fma_f16 v3, 0x3b29, v38, v6 op_sel:[0,0,1] op_sel_hi:[0,1,0] neg_lo:[0,1,0] neg_hi:[0,1,0]
	v_pk_mul_f16 v21, 0xb461, v50 op_sel_hi:[0,1]
	v_pk_mul_f16 v25, 0xb836, v25 op_sel_hi:[0,1]
	v_add_f16_e32 v13, v60, v62
	v_add_f16_e32 v12, v48, v12
	v_pk_add_f16 v5, v15, v5
	v_pk_fma_f16 v7, 0xb836, v29, v7 op_sel:[0,0,1] op_sel_hi:[0,1,0]
	v_pk_add_f16 v2, v3, v2
	v_pk_fma_f16 v3, 0xbbb2, v52, v21 op_sel:[0,0,1] op_sel_hi:[0,1,0] neg_lo:[0,1,0] neg_hi:[0,1,0]
	v_pk_fma_f16 v15, 0xbacd, v14, v25 op_sel:[0,0,1] op_sel_hi:[0,1,0]
	v_pack_b32_f16 v12, v12, v13
	v_pk_add_f16 v5, v7, v5
	v_pk_fma_f16 v4, 0x3964, v31, v4 op_sel:[0,0,1] op_sel_hi:[0,1,0]
	v_pk_add_f16 v2, v3, v2
	v_alignbit_b32 v3, s0, v15, 16
	v_pk_mul_f16 v7, 0x3b29, v27 op_sel_hi:[0,1]
	v_pk_mul_f16 v13, 0xbbf7, v29 op_sel_hi:[0,1]
	v_pk_add_f16 v4, v4, v5
	v_pk_fma_f16 v5, 0xba62, v33, v8 op_sel:[0,0,1] op_sel_hi:[0,1,0]
	v_pk_add_f16 v3, v3, v92
	v_pk_fma_f16 v8, 0x3722, v22, v7 op_sel_hi:[0,1,1]
	v_pk_fma_f16 v27, 0x2de8, v26, v13 op_sel:[0,0,1] op_sel_hi:[0,1,0]
	v_pk_mul_f16 v31, 0x3a62, v31 op_sel_hi:[0,1]
	v_pk_add_f16 v4, v5, v4
	v_pk_fma_f16 v5, 0x3b29, v38, v6 op_sel:[0,0,1] op_sel_hi:[0,1,0]
	v_pk_add_f16 v3, v8, v3
	v_alignbit_b32 v6, s0, v27, 16
	v_pk_fma_f16 v14, 0xbacd, v14, v25 op_sel:[0,0,1] op_sel_hi:[0,1,0] neg_lo:[0,0,1] neg_hi:[0,0,1]
	v_alignbit_b32 v25, s0, v92, 16
	v_pk_add_f16 v4, v5, v4
	v_pk_fma_f16 v5, 0xbbb2, v52, v21 op_sel:[0,0,1] op_sel_hi:[0,1,0]
	v_pk_add_f16 v3, v6, v3
	v_pk_fma_f16 v6, 0xb8d2, v28, v31 op_sel:[0,0,1] op_sel_hi:[0,1,0]
	v_pk_mul_f16 v21, 0xb5c8, v33 op_sel_hi:[0,1]
	v_pk_fma_f16 v7, 0x3722, v22, v7 op_sel_hi:[0,1,1] neg_lo:[0,0,1] neg_hi:[0,0,1]
	v_pk_mul_f16 v38, 0xb1e1, v38 op_sel_hi:[0,1]
	v_pk_add_f16 v25, v14, v25
	v_alignbit_b32 v22, s0, v6, 16
	v_pk_fma_f16 v33, 0x3b76, v30, v21 op_sel:[0,0,1] op_sel_hi:[0,1,0]
	v_alignbit_b32 v41, s0, v7, 16
	v_bfi_b32 v14, 0xffff, v15, v14
	v_pk_fma_f16 v15, 0xbbdd, v32, v38 op_sel:[0,0,1] op_sel_hi:[0,1,0]
	v_pk_add_f16 v3, v22, v3
	v_alignbit_b32 v22, s0, v33, 16
	v_pk_add_f16 v25, v41, v25
	v_pk_fma_f16 v13, 0x2de8, v26, v13 op_sel:[0,0,1] op_sel_hi:[0,1,0] neg_lo:[0,0,1] neg_hi:[0,0,1]
	v_pk_add_f16 v14, v14, v92 op_sel:[0,1] op_sel_hi:[1,0]
	v_alignbit_b32 v7, v7, v8, 16
	v_pk_add_f16 v3, v22, v3
	v_alignbit_b32 v8, s0, v15, 16
	v_pk_add_f16 v22, v13, v25
	v_pk_fma_f16 v25, 0xb8d2, v28, v31 op_sel:[0,0,1] op_sel_hi:[0,1,0] neg_lo:[0,0,1] neg_hi:[0,0,1]
	v_pk_mul_f16 v26, 0x3964, v52 op_sel_hi:[0,1]
	v_pk_add_f16 v7, v7, v14
	v_bfi_b32 v13, 0xffff, v27, v13
	v_pk_add_f16 v3, v8, v3
	v_pk_add_f16 v8, v25, v22
	v_pk_fma_f16 v14, 0x3b76, v30, v21 op_sel:[0,0,1] op_sel_hi:[0,1,0] neg_lo:[0,0,1] neg_hi:[0,0,1]
	v_pk_fma_f16 v21, 0x39e9, v50, v26 op_sel:[0,0,1] op_sel_hi:[0,1,0]
	v_pk_add_f16 v7, v13, v7
	v_bfi_b32 v6, 0xffff, v6, v25
	v_pk_mul_f16 v13, 0xbbb2, v51 op_sel_hi:[0,1]
	v_pk_add_f16 v8, v14, v8
	v_pk_fma_f16 v22, 0xbbdd, v32, v38 op_sel:[0,0,1] op_sel_hi:[0,1,0] neg_lo:[0,0,1] neg_hi:[0,0,1]
	v_alignbit_b32 v25, s0, v21, 16
	v_pk_add_f16 v6, v6, v7
	v_bfi_b32 v7, 0xffff, v33, v14
	v_pk_fma_f16 v14, 0xb461, v53, v13 op_sel:[0,0,1] op_sel_hi:[0,1,0]
	v_pk_add_f16 v8, v22, v8
	v_pk_fma_f16 v26, 0x39e9, v50, v26 op_sel:[0,0,1] op_sel_hi:[0,1,0] neg_lo:[0,0,1] neg_hi:[0,0,1]
	v_mul_f16_e64 v130, 0x39e9, v53
	v_pk_mul_f16 v29, 0x2de8, v53 op_sel_hi:[0,1]
	v_pk_add_f16 v3, v25, v3
	v_pk_add_f16 v6, v7, v6
	v_bfi_b32 v7, 0xffff, v15, v22
	v_alignbit_b32 v15, s0, v14, 16
	v_pk_add_f16 v8, v26, v8
	v_pk_fma_f16 v13, 0xb461, v53, v13 op_sel:[0,0,1] op_sel_hi:[0,1,0] neg_lo:[0,0,1] neg_hi:[0,0,1]
	v_sub_f16_e64 v75, v130, v83
	v_and_b32_e32 v9, 0xffff, v40
	v_pk_fma_f16 v34, 0x3bf7, v51, v29 op_sel:[0,0,1] op_sel_hi:[0,1,0] neg_lo:[0,1,0] neg_hi:[0,1,0]
	v_pk_add_f16 v4, v5, v4
	v_pk_add_f16 v5, v7, v6
	;; [unrolled: 1-line block ×4, first 2 shown]
	v_pk_fma_f16 v8, 0x3bf7, v51, v29 op_sel:[0,0,1] op_sel_hi:[0,1,0]
	v_bfi_b32 v6, 0xffff, v21, v26
	v_add_f16_e32 v58, v75, v58
	v_add_f16_e64 v67, v151, v67
	v_add_lshl_u32 v9, v23, v9, 2
	v_pk_add_f16 v2, v34, v2
	v_pack_b32_f16 v3, v7, v3
	v_pk_add_f16 v4, v8, v4
	v_pk_add_f16 v5, v6, v5
	v_bfi_b32 v6, 0xffff, v14, v13
	v_pack_b32_f16 v11, v58, v63
	v_pack_b32_f16 v7, v132, v137
	;; [unrolled: 1-line block ×3, first 2 shown]
	ds_store_2addr_b32 v9, v0, v3 offset1:7
	v_alignbit_b32 v0, v2, v4, 16
	v_alignbit_b32 v2, v4, v2, 16
	v_pk_add_f16 v5, v6, v5
	v_perm_b32 v3, v35, v24, 0x5040100
	v_perm_b32 v4, v46, v20, 0x5040100
	;; [unrolled: 1-line block ×6, first 2 shown]
	ds_store_2addr_b32 v9, v1, v10 offset0:1 offset1:2
	ds_store_2addr_b32 v9, v12, v11 offset0:3 offset1:4
	;; [unrolled: 1-line block ×7, first 2 shown]
	ds_store_b32 v9, v15 offset:64
.LBB0_7:
	s_or_b32 exec_lo, exec_lo, s0
	v_and_b32_e32 v0, 0xff, v37
	s_load_b128 s[4:7], s[4:5], 0x0
	s_waitcnt lgkmcnt(0)
	s_barrier
	buffer_gl0_inv
	v_mul_lo_u16 v0, 0xf1, v0
	v_add_lshl_u32 v41, v23, v37, 2
	v_cmp_gt_u16_e64 s0, 0x55, v37
	s_delay_alu instid0(VALU_DEP_3) | instskip(NEXT) | instid1(VALU_DEP_3)
	v_lshrrev_b16 v27, 12, v0
	v_add_nc_u32_e32 v12, 0x400, v41
	v_add_nc_u32_e32 v10, 0x200, v41
	;; [unrolled: 1-line block ×4, first 2 shown]
	v_mul_lo_u16 v0, v27, 17
	v_and_b32_e32 v27, 0xffff, v27
	v_add_nc_u32_e32 v33, 0x500, v41
	v_add_nc_u32_e32 v38, 0xb00, v41
	s_delay_alu instid0(VALU_DEP_4) | instskip(NEXT) | instid1(VALU_DEP_4)
	v_sub_nc_u16 v0, v37, v0
	v_mul_u32_u24_e32 v27, 0xbb, v27
	s_delay_alu instid0(VALU_DEP_2) | instskip(NEXT) | instid1(VALU_DEP_1)
	v_and_b32_e32 v28, 0xff, v0
	v_mul_u32_u24_e32 v0, 10, v28
	s_delay_alu instid0(VALU_DEP_3) | instskip(NEXT) | instid1(VALU_DEP_2)
	v_add_nc_u32_e32 v27, v27, v28
	v_lshlrev_b32_e32 v8, 2, v0
	s_delay_alu instid0(VALU_DEP_2)
	v_add_lshl_u32 v48, v23, v27, 2
	s_clause 0x2
	global_load_b128 v[4:7], v8, s[2:3]
	global_load_b128 v[0:3], v8, s[2:3] offset:16
	global_load_b64 v[21:22], v8, s[2:3] offset:32
	ds_load_2addr_b32 v[8:9], v41 offset1:102
	ds_load_b32 v29, v41 offset:4080
	ds_load_2addr_b32 v[10:11], v10 offset0:76 offset1:178
	ds_load_2addr_b32 v[12:13], v12 offset0:152 offset1:254
	;; [unrolled: 1-line block ×4, first 2 shown]
	s_waitcnt vmcnt(0) lgkmcnt(0)
	s_barrier
	buffer_gl0_inv
	v_lshrrev_b32_e32 v50, 16, v12
	v_lshrrev_b32_e32 v31, 16, v9
	;; [unrolled: 1-line block ×17, first 2 shown]
	v_mul_f16_e32 v23, v31, v70
	v_mul_f16_e32 v27, v9, v70
	v_lshrrev_b32_e32 v69, 16, v6
	v_lshrrev_b32_e32 v67, 16, v7
	;; [unrolled: 1-line block ×4, first 2 shown]
	v_mul_f16_e32 v55, v34, v68
	v_mul_f16_e32 v58, v10, v68
	;; [unrolled: 1-line block ×7, first 2 shown]
	v_fma_f16 v9, v9, v4, -v23
	v_fmac_f16_e32 v27, v31, v4
	v_mul_f16_e32 v60, v49, v69
	v_mul_f16_e32 v61, v11, v69
	;; [unrolled: 1-line block ×11, first 2 shown]
	v_fma_f16 v10, v10, v5, -v55
	v_fmac_f16_e32 v58, v34, v5
	v_fmac_f16_e32 v74, v28, v1
	v_fma_f16 v23, v25, v3, -v77
	v_fma_f16 v28, v26, v21, -v79
	;; [unrolled: 1-line block ×3, first 2 shown]
	v_fmac_f16_e32 v82, v32, v22
	v_add_f16_e32 v25, v8, v9
	v_add_f16_e32 v26, v30, v27
	v_fma_f16 v11, v11, v6, -v60
	v_fmac_f16_e32 v61, v49, v6
	v_fma_f16 v12, v12, v7, -v64
	v_fmac_f16_e32 v66, v50, v7
	;; [unrolled: 2-line block ×3, first 2 shown]
	v_fma_f16 v14, v14, v1, -v73
	v_fma_f16 v15, v15, v2, -v75
	v_fmac_f16_e32 v76, v52, v2
	v_fmac_f16_e32 v78, v53, v3
	;; [unrolled: 1-line block ×3, first 2 shown]
	v_add_f16_e32 v29, v9, v31
	v_add_f16_e32 v32, v27, v82
	v_sub_f16_e32 v9, v9, v31
	v_sub_f16_e32 v27, v27, v82
	v_add_f16_e32 v34, v10, v28
	v_sub_f16_e32 v50, v10, v28
	v_add_f16_e32 v10, v25, v10
	v_add_f16_e32 v25, v26, v58
	;; [unrolled: 1-line block ×3, first 2 shown]
	v_sub_f16_e32 v51, v58, v80
	v_add_f16_e32 v52, v11, v23
	v_sub_f16_e32 v54, v11, v23
	v_sub_f16_e32 v55, v61, v78
	v_sub_f16_e32 v71, v12, v15
	v_sub_f16_e32 v73, v66, v76
	v_sub_f16_e32 v79, v13, v14
	v_sub_f16_e32 v81, v72, v74
	v_mul_f16_e32 v26, 0xb853, v27
	v_mul_f16_e32 v58, 0xb853, v9
	;; [unrolled: 1-line block ×10, first 2 shown]
	v_add_f16_e32 v10, v10, v11
	v_add_f16_e32 v11, v25, v61
	;; [unrolled: 1-line block ×7, first 2 shown]
	v_mul_f16_e32 v89, 0xbb47, v51
	v_mul_f16_e32 v90, 0xbb47, v50
	;; [unrolled: 1-line block ×40, first 2 shown]
	v_fma_f16 v25, v29, 0x3abb, -v26
	v_fmamk_f16 v61, v32, 0x3abb, v58
	v_fmac_f16_e32 v26, 0x3abb, v29
	v_fma_f16 v58, v32, 0x3abb, -v58
	v_fma_f16 v121, v29, 0x36a6, -v83
	v_fmamk_f16 v122, v32, 0x36a6, v84
	v_fmac_f16_e32 v83, 0x36a6, v29
	v_fma_f16 v84, v32, 0x36a6, -v84
	v_fma_f16 v123, v29, 0xb08e, -v85
	v_fmac_f16_e32 v85, 0xb08e, v29
	v_fma_f16 v125, v29, 0xb93d, -v87
	v_fmac_f16_e32 v87, 0xb93d, v29
	v_fma_f16 v127, v29, 0xbbad, -v27
	v_fma_f16 v128, 0xbbad, v32, v9
	v_fmac_f16_e32 v27, 0xbbad, v29
	v_fma_f16 v9, v32, 0xbbad, -v9
	v_add_f16_e32 v10, v10, v12
	v_add_f16_e32 v11, v11, v66
	v_fmamk_f16 v124, v32, 0xb08e, v86
	v_fma_f16 v86, v32, 0xb08e, -v86
	v_fmamk_f16 v126, v32, 0xb93d, v88
	v_fma_f16 v88, v32, 0xb93d, -v88
	v_fma_f16 v29, v34, 0x36a6, -v89
	v_fmamk_f16 v32, v49, 0x36a6, v90
	v_fmac_f16_e32 v89, 0x36a6, v34
	v_fma_f16 v90, v49, 0x36a6, -v90
	v_fma_f16 v129, v34, 0xb93d, -v91
	v_fma_f16 v130, 0xb93d, v49, v92
	v_fmac_f16_e32 v91, 0xb93d, v34
	v_fma_f16 v92, v49, 0xb93d, -v92
	v_fma_f16 v131, v34, 0xbbad, -v93
	v_fma_f16 v132, 0xbbad, v49, v94
	v_fmac_f16_e32 v93, 0xbbad, v34
	v_fma_f16 v94, v49, 0xbbad, -v94
	v_fma_f16 v133, v34, 0xb08e, -v95
	v_fma_f16 v134, 0xb08e, v49, v96
	v_fmac_f16_e32 v95, 0xb08e, v34
	v_fma_f16 v96, v49, 0xb08e, -v96
	v_fma_f16 v135, v34, 0x3abb, -v51
	v_fma_f16 v136, 0x3abb, v49, v50
	v_fmac_f16_e32 v51, 0x3abb, v34
	v_fma_f16 v34, v49, 0x3abb, -v50
	v_fma_f16 v49, v52, 0xb08e, -v97
	v_fmamk_f16 v50, v53, 0xb08e, v98
	v_fmac_f16_e32 v97, 0xb08e, v52
	v_fma_f16 v98, v53, 0xb08e, -v98
	v_fma_f16 v137, v52, 0xbbad, -v99
	v_fma_f16 v138, 0xbbad, v53, v100
	v_fmac_f16_e32 v99, 0xbbad, v52
	v_fma_f16 v100, v53, 0xbbad, -v100
	v_fma_f16 v139, v52, 0x36a6, -v101
	v_fma_f16 v140, 0x36a6, v53, v102
	v_fmac_f16_e32 v101, 0x36a6, v52
	v_fma_f16 v102, v53, 0x36a6, -v102
	v_fma_f16 v141, v52, 0x3abb, -v103
	v_fma_f16 v142, 0x3abb, v53, v104
	v_fmac_f16_e32 v103, 0x3abb, v52
	v_fma_f16 v104, v53, 0x3abb, -v104
	v_fma_f16 v143, v52, 0xb93d, -v55
	v_fma_f16 v144, 0xb93d, v53, v54
	v_fmac_f16_e32 v55, 0xb93d, v52
	;; [unrolled: 20-line block ×4, first 2 shown]
	v_fma_f16 v77, v77, 0xb08e, -v79
	v_add_f16_e32 v12, v8, v25
	v_add_f16_e32 v25, v30, v61
	;; [unrolled: 1-line block ×20, first 2 shown]
	v_add_f16_e64 v124, v30, v128
	v_add_f16_e32 v88, v30, v88
	v_add_f16_e32 v12, v29, v12
	v_add_f16_e32 v13, v32, v25
	v_add_f16_e32 v25, v89, v26
	v_add_f16_e32 v26, v90, v58
	v_add_f16_e64 v27, v129, v61
	v_add_f16_e64 v29, v130, v66
	v_add_f16_e32 v30, v91, v75
	v_add_f16_e32 v32, v92, v79
	;; [unrolled: 1-line block ×6, first 2 shown]
	v_add_f16_e64 v58, v131, v83
	v_add_f16_e64 v61, v132, v84
	v_add_f16_e32 v66, v93, v85
	v_add_f16_e32 v72, v94, v86
	v_add_f16_e64 v75, v133, v121
	v_add_f16_e64 v79, v134, v122
	;; [unrolled: 1-line block ×4, first 2 shown]
	v_add_f16_e32 v83, v95, v87
	v_add_f16_e32 v84, v96, v88
	;; [unrolled: 1-line block ×5, first 2 shown]
	v_add_f16_e64 v26, v137, v27
	v_add_f16_e64 v27, v138, v29
	v_add_f16_e32 v29, v99, v30
	v_add_f16_e32 v30, v100, v32
	;; [unrolled: 1-line block ×7, first 2 shown]
	v_add_f16_e64 v32, v139, v58
	v_add_f16_e64 v34, v140, v61
	v_add_f16_e32 v49, v101, v66
	v_add_f16_e32 v50, v102, v72
	v_add_f16_e64 v51, v141, v75
	v_add_f16_e64 v58, v142, v79
	;; [unrolled: 1-line block ×4, first 2 shown]
	v_add_f16_e32 v61, v103, v83
	v_add_f16_e32 v66, v104, v84
	;; [unrolled: 1-line block ×4, first 2 shown]
	v_add_f16_e64 v25, v145, v26
	v_add_f16_e64 v26, v146, v27
	v_add_f16_e32 v27, v107, v29
	v_add_f16_e32 v29, v108, v30
	;; [unrolled: 1-line block ×8, first 2 shown]
	v_add_f16_e64 v30, v147, v32
	v_add_f16_e64 v32, v148, v34
	v_add_f16_e32 v34, v109, v49
	v_add_f16_e32 v49, v110, v50
	v_add_f16_e64 v50, v149, v51
	v_add_f16_e64 v51, v150, v58
	;; [unrolled: 1-line block ×4, first 2 shown]
	v_add_f16_e32 v52, v111, v61
	v_add_f16_e32 v53, v112, v66
	;; [unrolled: 1-line block ×11, first 2 shown]
	v_add_f16_e64 v14, v153, v25
	v_add_f16_e64 v15, v154, v26
	v_add_f16_e32 v26, v115, v27
	v_add_f16_e64 v27, v155, v30
	v_add_f16_e64 v32, v156, v32
	v_add_f16_e32 v25, v117, v34
	v_add_f16_e32 v74, v118, v49
	v_add_f16_e64 v34, v157, v50
	v_add_f16_e64 v49, v158, v51
	;; [unrolled: 1-line block ×4, first 2 shown]
	v_add_f16_e32 v30, v119, v52
	v_add_f16_e32 v75, v120, v53
	v_add_f16_e32 v8, v8, v31
	v_add_f16_e32 v9, v9, v82
	v_pack_b32_f16 v10, v12, v13
	v_pack_b32_f16 v11, v14, v15
	;; [unrolled: 1-line block ×11, first 2 shown]
	ds_store_2addr_b32 v48, v11, v12 offset0:34 offset1:51
	ds_store_2addr_b32 v48, v13, v14 offset0:68 offset1:85
	ds_store_2addr_b32 v48, v15, v27 offset0:102 offset1:119
	ds_store_2addr_b32 v48, v28, v31 offset0:136 offset1:153
	ds_store_b32 v48, v32 offset:680
	ds_store_2addr_b32 v48, v8, v10 offset1:17
	s_waitcnt lgkmcnt(0)
	s_barrier
	buffer_gl0_inv
	ds_load_2addr_b32 v[31:32], v41 offset1:187
	ds_load_2addr_b32 v[33:34], v33 offset0:54 offset1:241
	ds_load_2addr_b32 v[27:28], v38 offset0:44 offset1:231
	s_and_saveexec_b32 s1, s0
	s_cbranch_execz .LBB0_9
; %bb.8:
	v_add_nc_u32_e32 v8, 0x100, v41
	v_add_nc_u32_e32 v9, 0x700, v41
	;; [unrolled: 1-line block ×3, first 2 shown]
	ds_load_2addr_b32 v[29:30], v8 offset0:38 offset1:225
	ds_load_2addr_b32 v[25:26], v9 offset0:28 offset1:215
	;; [unrolled: 1-line block ×3, first 2 shown]
	s_waitcnt lgkmcnt(2)
	v_lshrrev_b32_e32 v71, 16, v29
	v_lshrrev_b32_e32 v75, 16, v30
	s_waitcnt lgkmcnt(1)
	v_lshrrev_b32_e32 v74, 16, v25
	v_lshrrev_b32_e32 v73, 16, v26
	;; [unrolled: 3-line block ×3, first 2 shown]
.LBB0_9:
	s_or_b32 exec_lo, exec_lo, s1
	v_mad_u64_u32 v[8:9], null, v37, 20, s[2:3]
	v_add_nc_u32_e32 v10, 0x66, v37
	v_add_nc_u32_e32 v11, 0xffffffab, v37
	s_waitcnt lgkmcnt(1)
	v_lshrrev_b32_e32 v53, 16, v34
	s_waitcnt lgkmcnt(0)
	v_lshrrev_b32_e32 v55, 16, v28
	v_lshrrev_b32_e32 v54, 16, v27
	;; [unrolled: 1-line block ×3, first 2 shown]
	s_clause 0x1
	global_load_b128 v[12:15], v[8:9], off offset:680
	global_load_b32 v50, v[8:9], off offset:696
	v_cndmask_b32_e64 v8, v11, v10, s0
	v_lshl_add_u32 v38, v37, 2, v39
	s_delay_alu instid0(VALU_DEP_2) | instskip(SKIP_1) | instid1(VALU_DEP_3)
	v_mul_i32_i24_e32 v9, 20, v8
	v_mul_hi_i32_i24_e32 v8, 20, v8
	v_add_nc_u32_e32 v84, 0x500, v38
	v_add_nc_u32_e32 v85, 0xb00, v38
	s_delay_alu instid0(VALU_DEP_4) | instskip(NEXT) | instid1(VALU_DEP_1)
	v_add_co_u32 v51, s1, s2, v9
	v_add_co_ci_u32_e64 v52, s1, s3, v8, s1
	s_clause 0x1
	global_load_b128 v[8:11], v[51:52], off offset:680
	global_load_b32 v49, v[51:52], off offset:696
	v_lshrrev_b32_e32 v51, 16, v32
	v_lshrrev_b32_e32 v52, 16, v33
	s_waitcnt vmcnt(3)
	v_lshrrev_b32_e32 v66, 16, v12
	v_lshrrev_b32_e32 v64, 16, v13
	;; [unrolled: 1-line block ×4, first 2 shown]
	s_waitcnt vmcnt(2)
	v_lshrrev_b32_e32 v58, 16, v50
	v_mul_f16_e32 v78, v32, v66
	v_mul_f16_e32 v80, v33, v64
	;; [unrolled: 1-line block ×10, first 2 shown]
	v_fmac_f16_e32 v78, v51, v12
	v_fmac_f16_e32 v80, v52, v13
	v_fma_f16 v34, v34, v14, -v81
	v_fmac_f16_e32 v82, v53, v14
	v_fmac_f16_e32 v86, v54, v15
	v_fma_f16 v28, v28, v50, -v87
	v_fmac_f16_e32 v88, v55, v50
	s_waitcnt vmcnt(1)
	v_lshrrev_b32_e32 v53, 16, v8
	v_lshrrev_b32_e32 v55, 16, v10
	s_waitcnt vmcnt(0)
	v_lshrrev_b32_e32 v54, 16, v49
	v_fma_f16 v32, v32, v12, -v77
	v_fma_f16 v33, v33, v13, -v79
	;; [unrolled: 1-line block ×3, first 2 shown]
	v_lshrrev_b32_e32 v51, 16, v9
	v_lshrrev_b32_e32 v52, 16, v11
	v_sub_f16_e32 v81, v80, v86
	v_add_f16_e32 v83, v76, v80
	v_add_f16_e32 v80, v80, v86
	v_add_f16_e32 v89, v34, v28
	v_sub_f16_e32 v90, v82, v88
	v_add_f16_e32 v91, v78, v82
	v_add_f16_e32 v82, v82, v88
	v_mul_f16_e32 v92, v75, v53
	v_mul_f16_e32 v96, v73, v55
	;; [unrolled: 1-line block ×5, first 2 shown]
	v_add_f16_e32 v77, v31, v33
	v_add_f16_e32 v79, v33, v27
	v_sub_f16_e32 v33, v33, v27
	v_add_f16_e32 v87, v32, v34
	v_sub_f16_e32 v34, v34, v28
	v_mul_f16_e32 v93, v30, v53
	v_mul_f16_e32 v94, v74, v51
	;; [unrolled: 1-line block ×5, first 2 shown]
	v_fmac_f16_e32 v76, -0.5, v80
	v_fmac_f16_e32 v32, -0.5, v89
	v_fmac_f16_e32 v78, -0.5, v82
	v_fma_f16 v80, v30, v8, -v92
	v_fma_f16 v26, v26, v10, -v96
	v_fmac_f16_e32 v97, v73, v10
	v_fma_f16 v30, v24, v49, -v100
	v_fmac_f16_e32 v101, v35, v49
	v_add_f16_e32 v27, v77, v27
	v_fmac_f16_e32 v31, -0.5, v79
	v_add_f16_e32 v77, v83, v86
	v_add_f16_e32 v28, v87, v28
	;; [unrolled: 1-line block ×3, first 2 shown]
	v_fmac_f16_e32 v93, v75, v8
	v_fma_f16 v25, v25, v9, -v94
	v_fmac_f16_e32 v95, v74, v9
	v_fma_f16 v23, v23, v11, -v98
	v_fmac_f16_e32 v99, v72, v11
	v_fmamk_f16 v74, v33, 0xbaee, v76
	v_fmac_f16_e32 v76, 0x3aee, v33
	v_fmamk_f16 v33, v90, 0x3aee, v32
	v_fmamk_f16 v75, v34, 0xbaee, v78
	v_fmac_f16_e32 v78, 0x3aee, v34
	v_add_f16_e32 v83, v26, v30
	v_add_f16_e32 v88, v97, v101
	v_fmamk_f16 v35, v81, 0x3aee, v31
	v_fmac_f16_e32 v31, 0xbaee, v81
	v_fmac_f16_e32 v32, 0xbaee, v90
	v_add_f16_e32 v24, v27, v28
	v_add_f16_e32 v72, v77, v79
	v_sub_f16_e32 v27, v27, v28
	v_sub_f16_e32 v73, v77, v79
	v_add_f16_e32 v28, v29, v25
	v_add_f16_e32 v34, v25, v23
	;; [unrolled: 1-line block ×5, first 2 shown]
	v_sub_f16_e32 v86, v97, v101
	v_add_f16_e32 v87, v93, v97
	v_sub_f16_e32 v26, v26, v30
	v_mul_f16_e32 v91, 0xbaee, v33
	v_mul_f16_e32 v92, -0.5, v78
	v_fmac_f16_e32 v80, -0.5, v83
	v_fmac_f16_e32 v93, -0.5, v88
	v_sub_f16_e32 v77, v95, v99
	v_sub_f16_e32 v25, v25, v23
	v_mul_f16_e32 v89, 0x3aee, v75
	v_mul_f16_e32 v90, -0.5, v32
	v_add_f16_e32 v23, v28, v23
	v_fmac_f16_e32 v29, -0.5, v34
	v_add_f16_e32 v28, v79, v99
	v_fmac_f16_e32 v71, -0.5, v81
	v_add_f16_e32 v34, v82, v30
	v_add_f16_e32 v79, v87, v101
	v_fmac_f16_e32 v91, 0.5, v75
	v_fmac_f16_e32 v92, 0xbaee, v32
	v_fmamk_f16 v32, v86, 0x3aee, v80
	v_fmac_f16_e32 v80, 0xbaee, v86
	v_fmamk_f16 v81, v26, 0xbaee, v93
	v_fmac_f16_e32 v93, 0x3aee, v26
	v_fmac_f16_e32 v89, 0.5, v33
	v_fmac_f16_e32 v90, 0x3aee, v78
	v_fmamk_f16 v87, v77, 0x3aee, v29
	v_fmac_f16_e32 v29, 0xbaee, v77
	v_add_f16_e32 v30, v23, v34
	v_add_f16_e32 v77, v28, v79
	v_sub_f16_e32 v33, v23, v34
	v_sub_f16_e32 v75, v28, v79
	v_add_f16_e32 v83, v74, v91
	v_add_f16_e32 v82, v76, v92
	v_sub_f16_e32 v79, v74, v91
	v_sub_f16_e32 v78, v76, v92
	v_mul_f16_e32 v23, 0x3aee, v81
	v_mul_f16_e32 v74, -0.5, v80
	v_mul_f16_e32 v76, 0xbaee, v32
	v_mul_f16_e32 v86, -0.5, v93
	v_fmamk_f16 v88, v25, 0xbaee, v71
	v_fmac_f16_e32 v71, 0x3aee, v25
	v_add_f16_e32 v25, v35, v89
	v_fmac_f16_e32 v23, 0.5, v32
	v_fmac_f16_e32 v74, 0x3aee, v93
	v_fmac_f16_e32 v76, 0.5, v81
	v_fmac_f16_e32 v86, 0xbaee, v80
	v_add_f16_e32 v26, v31, v90
	v_sub_f16_e32 v34, v35, v89
	v_sub_f16_e32 v35, v31, v90
	v_pack_b32_f16 v94, v24, v72
	v_pack_b32_f16 v89, v25, v83
	v_add_f16_e32 v31, v87, v23
	v_add_f16_e32 v32, v29, v74
	;; [unrolled: 1-line block ×4, first 2 shown]
	v_sub_f16_e32 v28, v87, v23
	v_sub_f16_e32 v29, v29, v74
	v_sub_f16_e32 v76, v88, v76
	v_sub_f16_e32 v74, v71, v86
	v_pack_b32_f16 v95, v27, v73
	v_pack_b32_f16 v90, v26, v82
	;; [unrolled: 1-line block ×4, first 2 shown]
	ds_store_2addr_b32 v38, v94, v89 offset1:187
	ds_store_2addr_b32 v84, v90, v95 offset0:54 offset1:241
	ds_store_2addr_b32 v85, v91, v92 offset0:44 offset1:231
	s_and_saveexec_b32 s1, s0
	s_cbranch_execz .LBB0_11
; %bb.10:
	v_perm_b32 v23, v77, v30, 0x5040100
	v_perm_b32 v71, v81, v31, 0x5040100
	v_add_nc_u32_e32 v84, 0x100, v38
	v_perm_b32 v85, v80, v32, 0x5040100
	v_perm_b32 v86, v75, v33, 0x5040100
	v_add_nc_u32_e32 v87, 0x700, v38
	;; [unrolled: 3-line block ×3, first 2 shown]
	ds_store_2addr_b32 v84, v23, v71 offset0:38 offset1:225
	ds_store_2addr_b32 v87, v85, v86 offset0:28 offset1:215
	;; [unrolled: 1-line block ×3, first 2 shown]
.LBB0_11:
	s_or_b32 exec_lo, exec_lo, s1
	s_waitcnt lgkmcnt(0)
	s_barrier
	buffer_gl0_inv
	s_and_saveexec_b32 s2, vcc_lo
	s_cbranch_execz .LBB0_13
; %bb.12:
	v_add_co_u32 v23, s1, s12, v36
	s_delay_alu instid0(VALU_DEP_1) | instskip(SKIP_1) | instid1(VALU_DEP_3)
	v_add_co_ci_u32_e64 v71, null, s13, 0, s1
	v_add_nc_u32_e32 v115, 0x400, v38
	v_add_co_u32 v84, s1, 0x1000, v23
	s_delay_alu instid0(VALU_DEP_1) | instskip(SKIP_1) | instid1(VALU_DEP_1)
	v_add_co_ci_u32_e64 v85, s1, 0, v71, s1
	v_add_co_u32 v86, s1, 0x1188, v23
	v_add_co_ci_u32_e64 v87, s1, 0, v71, s1
	v_add_nc_u32_e32 v116, 0x800, v38
	s_clause 0x8
	global_load_b32 v100, v[84:85], off offset:392
	global_load_b32 v101, v[86:87], off offset:264
	;; [unrolled: 1-line block ×9, first 2 shown]
	v_add_co_u32 v84, s1, 0x2000, v23
	s_delay_alu instid0(VALU_DEP_1)
	v_add_co_ci_u32_e64 v85, s1, 0, v71, s1
	s_clause 0x7
	global_load_b32 v23, v[86:87], off offset:2376
	global_load_b32 v71, v[86:87], off offset:2640
	;; [unrolled: 1-line block ×8, first 2 shown]
	ds_load_2addr_b32 v[84:85], v38 offset1:66
	ds_load_2addr_b32 v[86:87], v38 offset0:132 offset1:198
	v_add_nc_u32_e32 v118, 0xc00, v38
	ds_load_b32 v117, v38 offset:4224
	ds_load_2addr_b32 v[88:89], v115 offset0:8 offset1:74
	ds_load_2addr_b32 v[90:91], v115 offset0:140 offset1:206
	;; [unrolled: 1-line block ×6, first 2 shown]
	s_waitcnt lgkmcnt(8)
	v_lshrrev_b32_e32 v119, 16, v84
	v_lshrrev_b32_e32 v120, 16, v85
	s_waitcnt lgkmcnt(7)
	v_lshrrev_b32_e32 v121, 16, v86
	v_lshrrev_b32_e32 v122, 16, v87
	;; [unrolled: 3-line block ×5, first 2 shown]
	v_lshrrev_b32_e32 v123, 16, v117
	s_waitcnt lgkmcnt(2)
	v_lshrrev_b32_e32 v130, 16, v94
	v_lshrrev_b32_e32 v131, 16, v95
	s_waitcnt lgkmcnt(1)
	v_lshrrev_b32_e32 v132, 16, v96
	;; [unrolled: 3-line block ×3, first 2 shown]
	v_lshrrev_b32_e32 v135, 16, v99
	s_waitcnt vmcnt(16)
	v_lshrrev_b32_e32 v136, 16, v100
	s_waitcnt vmcnt(15)
	;; [unrolled: 2-line block ×17, first 2 shown]
	v_lshrrev_b32_e32 v152, 16, v114
	v_mul_f16_e64 v153, v119, v136
	v_mul_f16_e64 v136, v84, v136
	v_mul_f16_e64 v154, v120, v137
	v_mul_f16_e64 v137, v85, v137
	v_mul_f16_e64 v155, v121, v138
	v_mul_f16_e64 v138, v86, v138
	v_mul_f16_e64 v156, v122, v139
	v_mul_f16_e64 v139, v87, v139
	v_mul_f16_e64 v157, v124, v140
	v_mul_f16_e64 v140, v88, v140
	v_mul_f16_e64 v158, v125, v141
	v_mul_f16_e64 v141, v89, v141
	v_mul_f16_e64 v159, v126, v142
	v_mul_f16_e64 v142, v90, v142
	v_mul_f16_e64 v160, v127, v143
	v_mul_f16_e64 v143, v91, v143
	v_mul_f16_e64 v161, v128, v144
	v_mul_f16_e64 v144, v92, v144
	v_mul_f16_e64 v162, v129, v145
	v_mul_f16_e64 v145, v93, v145
	v_mul_f16_e64 v163, v130, v146
	v_mul_f16_e64 v146, v94, v146
	v_mul_f16_e64 v164, v131, v147
	v_mul_f16_e64 v147, v95, v147
	v_mul_f16_e64 v165, v132, v148
	v_mul_f16_e64 v148, v96, v148
	v_mul_f16_e64 v166, v133, v149
	v_mul_f16_e64 v149, v97, v149
	v_mul_f16_e64 v167, v134, v150
	v_mul_f16_e64 v150, v98, v150
	v_mul_f16_e64 v168, v135, v151
	v_mul_f16_e64 v151, v99, v151
	v_mul_f16_e64 v169, v123, v152
	v_mul_f16_e64 v152, v117, v152
	v_fma_f16 v84, v84, v100, -v153
	v_fmac_f16_e64 v136, v119, v100
	v_fma_f16 v85, v85, v101, -v154
	v_fmac_f16_e64 v137, v120, v101
	;; [unrolled: 2-line block ×17, first 2 shown]
	v_pack_b32_f16 v84, v84, v136
	v_pack_b32_f16 v85, v85, v137
	;; [unrolled: 1-line block ×17, first 2 shown]
	ds_store_2addr_b32 v38, v84, v85 offset1:66
	ds_store_2addr_b32 v38, v86, v87 offset0:132 offset1:198
	ds_store_2addr_b32 v115, v88, v89 offset0:8 offset1:74
	;; [unrolled: 1-line block ×7, first 2 shown]
	ds_store_b32 v38, v98 offset:4224
.LBB0_13:
	s_or_b32 exec_lo, exec_lo, s2
	s_waitcnt lgkmcnt(0)
	s_barrier
	buffer_gl0_inv
	s_and_saveexec_b32 s1, vcc_lo
	s_cbranch_execz .LBB0_15
; %bb.14:
	v_add_nc_u32_e32 v17, 0x400, v38
	v_add_nc_u32_e32 v18, 0x800, v38
	ds_load_2addr_b32 v[24:25], v38 offset1:66
	ds_load_2addr_b32 v[26:27], v38 offset0:132 offset1:198
	ds_load_2addr_b32 v[34:35], v17 offset0:8 offset1:74
	;; [unrolled: 1-line block ×3, first 2 shown]
	v_add_nc_u32_e32 v17, 0xc00, v38
	ds_load_2addr_b32 v[32:33], v18 offset0:16 offset1:82
	ds_load_2addr_b32 v[28:29], v18 offset0:148 offset1:214
	;; [unrolled: 1-line block ×4, first 2 shown]
	ds_load_b32 v42, v38 offset:4224
	s_waitcnt lgkmcnt(8)
	v_lshrrev_b32_e32 v72, 16, v24
	v_lshrrev_b32_e32 v83, 16, v25
	s_waitcnt lgkmcnt(7)
	v_lshrrev_b32_e32 v82, 16, v26
	v_lshrrev_b32_e32 v73, 16, v27
	;; [unrolled: 3-line block ×8, first 2 shown]
	s_waitcnt lgkmcnt(0)
	v_lshrrev_b32_e32 v45, 16, v42
.LBB0_15:
	s_or_b32 exec_lo, exec_lo, s1
	s_delay_alu instid0(VALU_DEP_1)
	v_sub_f16_e32 v111, v83, v45
	v_add_f16_e64 v129, v45, v83
	v_add_f16_e32 v84, v42, v25
	v_sub_f16_e32 v87, v25, v42
	v_sub_f16_e32 v113, v82, v43
	v_mul_f16_e32 v103, 0xba62, v111
	v_mul_f16_e64 v102, 0xb8d2, v129
	v_add_f16_e64 v133, v43, v82
	v_add_f16_e32 v85, v18, v26
	v_sub_f16_e32 v90, v26, v18
	v_fma_f16 v23, v84, 0xb8d2, -v103
	v_fmamk_f16 v71, v87, 0xba62, v102
	v_mul_f16_e32 v104, 0x3bb2, v113
	v_mul_f16_e64 v110, 0xb461, v133
	v_sub_f16_e32 v108, v73, v44
	v_add_f16_e64 v137, v44, v73
	v_add_f16_e32 v23, v24, v23
	v_add_f16_e32 v71, v72, v71
	v_fma_f16 v88, v85, 0xb461, -v104
	v_fmamk_f16 v91, v90, 0x3bb2, v110
	v_add_f16_e32 v86, v17, v27
	v_mul_f16_e32 v105, 0xb5c8, v108
	v_sub_f16_e32 v89, v27, v17
	v_mul_f16_e64 v157, 0x3b76, v137
	v_sub_f16_e32 v109, v79, v46
	v_add_f16_e64 v139, v46, v79
	v_add_f16_e32 v23, v88, v23
	v_add_f16_e32 v71, v91, v71
	v_fma_f16 v92, v86, 0x3b76, -v105
	v_fma_f16 v93, 0xb5c8, v89, v157
	v_add_f16_e32 v88, v20, v34
	v_sub_f16_e32 v91, v34, v20
	v_mul_f16_e32 v106, 0xb836, v109
	v_mul_f16_e64 v147, 0xbacd, v139
	v_sub_f16_e32 v112, v78, v47
	v_add_f16_e64 v148, v47, v78
	v_add_f16_e32 v23, v92, v23
	v_add_f16_e32 v71, v93, v71
	v_fma_f16 v93, v88, 0xbacd, -v106
	v_fma_f16 v95, 0xb836, v91, v147
	v_add_f16_e32 v92, v19, v35
	v_mul_f16_e32 v107, 0x3bf7, v112
	v_sub_f16_e32 v94, v35, v19
	v_mul_f16_e64 v158, 0x2de8, v148
	v_sub_f16_e32 v114, v77, v74
	v_add_f16_e64 v154, v74, v77
	v_add_f16_e32 v23, v93, v23
	v_add_f16_e32 v71, v95, v71
	v_fma_f16 v96, v92, 0x2de8, -v107
	v_fma_f16 v97, 0x3bf7, v94, v158
	v_add_f16_e32 v93, v29, v30
	v_sub_f16_e32 v95, v30, v29
	v_mul_f16_e32 v121, 0xb964, v114
	v_mul_f16_e64 v161, 0x39e9, v154
	v_sub_f16_e32 v115, v81, v76
	v_add_f16_e64 v138, v76, v81
	v_add_f16_e32 v23, v96, v23
	v_add_f16_e32 v71, v97, v71
	v_fma_f16 v97, v93, 0x39e9, -v121
	v_fma_f16 v99, 0xb964, v95, v161
	v_add_f16_e32 v96, v28, v31
	v_mul_f16_e64 v159, 0xb1e1, v115
	v_sub_f16_e32 v98, v31, v28
	v_mul_f16_e64 v163, 0xbbdd, v138
	v_sub_f16_e32 v120, v80, v75
	v_add_f16_e64 v131, v75, v80
	v_add_f16_e32 v23, v97, v23
	v_add_f16_e32 v71, v99, v71
	v_fma_f16 v100, v96, 0xbbdd, -v159
	v_fma_f16 v101, 0xb1e1, v98, v163
	v_add_f16_e32 v97, v33, v32
	v_sub_f16_e32 v99, v32, v33
	v_mul_f16_e64 v160, 0x3b29, v120
	v_mul_f16_e64 v162, 0x3722, v131
	v_add_f16_e32 v23, v100, v23
	v_add_f16_e32 v71, v101, v71
	s_delay_alu instid0(VALU_DEP_4) | instskip(NEXT) | instid1(VALU_DEP_4)
	v_fma_f16 v100, v97, 0x3722, -v160
	v_fma_f16 v101, 0x3b29, v99, v162
	s_barrier
	buffer_gl0_inv
	v_add_f16_e32 v23, v100, v23
	v_add_f16_e32 v71, v101, v71
	s_and_saveexec_b32 s1, vcc_lo
	s_cbranch_execz .LBB0_17
; %bb.16:
	v_mul_f16_e64 v135, 0xbbdd, v129
	v_mul_f16_e64 v122, 0x3b76, v133
	;; [unrolled: 1-line block ×5, first 2 shown]
	v_fma_f16 v100, 0x31e1, v87, v135
	v_fmamk_f16 v101, v90, 0xb5c8, v122
	v_mul_f16_e64 v140, 0xb1e1, v111
	v_mul_f16_e64 v130, 0x3722, v154
	;; [unrolled: 1-line block ×3, first 2 shown]
	v_add_f16_e32 v100, v72, v100
	v_mul_f16_e64 v132, 0xb461, v138
	v_fma_f16 v116, 0xbbdd, v84, v140
	v_mul_f16_e64 v143, 0xb836, v108
	v_fma_f16 v117, 0x3b76, v85, v142
	v_add_f16_e32 v100, v101, v100
	v_fmamk_f16 v101, v89, 0x3836, v123
	v_add_f16_e32 v116, v24, v116
	v_mul_f16_e64 v146, 0x3964, v109
	v_mul_f16_e64 v128, 0xbacd, v129
	;; [unrolled: 1-line block ×3, first 2 shown]
	v_add_f16_e32 v100, v101, v100
	v_fmamk_f16 v101, v91, 0xb964, v124
	v_add_f16_e32 v116, v117, v116
	v_fma_f16 v117, 0xbacd, v86, v143
	v_fma_f16 v118, 0x3836, v87, v128
	v_mul_f16_e64 v134, 0x2de8, v131
	v_add_f16_e32 v100, v101, v100
	v_fmamk_f16 v101, v94, 0x3a62, v125
	v_fma_f16 v126, 0xb8d2, v92, v153
	v_mul_f16_e64 v155, 0x3b29, v114
	v_add_f16_e32 v118, v72, v118
	v_fma_f16 v119, 0xbbf7, v99, v134
	v_add_f16_e32 v100, v101, v100
	v_fma_f16 v101, 0xbb29, v95, v130
	v_mul_f16_e64 v156, 0xbbb2, v115
	v_mul_f16_e64 v149, 0xb836, v111
	;; [unrolled: 1-line block ×4, first 2 shown]
	v_add_f16_e32 v100, v101, v100
	v_fma_f16 v101, 0x3bb2, v98, v132
	v_fma_f16 v152, 0xbacd, v84, v149
	;; [unrolled: 1-line block ×3, first 2 shown]
	v_mul_f16_e64 v150, 0x3bb2, v90
	v_sub_f16_e64 v102, v102, v136
	v_add_f16_e32 v100, v101, v100
	v_add_f16_e32 v101, v117, v116
	v_fma_f16 v117, 0x39e9, v88, v146
	v_mul_f16_e64 v116, 0x3722, v133
	v_add_f16_e64 v152, v24, v152
	v_add_f16_e32 v100, v119, v100
	v_mul_f16_e64 v119, 0x3b76, v148
	v_add_f16_e32 v101, v117, v101
	v_fmamk_f16 v127, v90, 0xbb29, v116
	v_mul_f16_e64 v117, 0x2de8, v137
	v_add_f16_e64 v152, v180, v152
	v_mul_f16_e64 v164, 0xb8d2, v84
	v_add_f16_e32 v101, v126, v101
	v_fma_f16 v126, 0x3722, v93, v155
	v_add_f16_e32 v127, v127, v118
	v_fma_f16 v141, 0x3bf7, v89, v117
	v_mul_f16_e64 v118, 0xb8d2, v139
	v_mul_f16_e64 v167, 0xb5c8, v89
	v_add_f16_e32 v101, v126, v101
	v_fma_f16 v126, 0xb461, v96, v156
	v_add_f16_e64 v127, v141, v127
	v_fma_f16 v144, 0xba62, v91, v118
	v_mul_f16_e64 v141, 0x3bf7, v120
	v_add_f16_e32 v102, v72, v102
	v_add_f16_e32 v101, v126, v101
	v_mul_f16_e64 v126, 0xbbdd, v154
	v_add_f16_e64 v127, v144, v127
	v_fma_f16 v144, 0x35c8, v94, v119
	v_fma_f16 v145, 0x2de8, v97, v141
	v_sub_f16_e64 v110, v110, v150
	v_fma_f16 v178, 0x31e1, v95, v126
	v_mul_f16_e64 v165, 0xb461, v85
	v_add_f16_e64 v177, v144, v127
	v_mul_f16_e64 v127, 0x39e9, v138
	v_mul_f16_e64 v144, 0xbbf7, v108
	v_add_f16_e64 v101, v145, v101
	v_mul_f16_e64 v145, 0x3a62, v109
	v_add_f16_e64 v177, v178, v177
	v_fma_f16 v178, 0xb964, v98, v127
	v_fma_f16 v180, 0x2de8, v86, v144
	v_mul_f16_e64 v169, 0xb836, v91
	v_mul_f16_e64 v150, 0xb1e1, v114
	v_add_f16_e32 v110, v110, v102
	v_add_f16_e64 v177, v178, v177
	v_add_f16_e64 v178, v180, v152
	v_fma_f16 v180, 0xb8d2, v88, v145
	v_mul_f16_e64 v152, 0xb5c8, v112
	v_sub_f16_e64 v157, v157, v167
	v_add_f16_e64 v103, v164, v103
	v_mul_f16_e64 v166, 0x3b76, v86
	v_add_f16_e64 v178, v180, v178
	v_fma_f16 v180, 0x3b76, v92, v152
	v_mul_f16_e64 v171, 0x3bf7, v94
	v_mul_f16_e64 v136, 0xb461, v131
	v_fma_f16 v164, 0xbbdd, v93, v150
	v_add_f16_e64 v110, v157, v110
	v_add_f16_e64 v167, v180, v178
	v_sub_f16_e64 v147, v147, v169
	v_mul_f16_e64 v157, 0x3964, v115
	v_add_f16_e32 v103, v24, v103
	v_add_f16_e64 v104, v165, v104
	v_mul_f16_e64 v168, 0xbacd, v88
	v_mul_f16_e64 v173, 0xb964, v95
	v_fma_f16 v181, 0x3bb2, v99, v136
	v_add_f16_e64 v164, v164, v167
	v_add_f16_e64 v110, v147, v110
	v_sub_f16_e64 v147, v158, v171
	v_fma_f16 v165, 0x39e9, v96, v157
	v_add_f16_e32 v103, v104, v103
	v_add_f16_e64 v104, v166, v105
	v_mul_f16_e64 v158, 0xbbb2, v120
	v_mul_f16_e64 v170, 0x2de8, v92
	;; [unrolled: 1-line block ×3, first 2 shown]
	v_add_f16_e64 v102, v181, v177
	v_add_f16_e64 v105, v147, v110
	v_sub_f16_e64 v110, v161, v173
	v_add_f16_e64 v147, v165, v164
	v_add_f16_e32 v103, v104, v103
	v_add_f16_e64 v104, v168, v106
	v_fma_f16 v106, 0xb461, v97, v158
	v_mul_f16_e64 v177, 0xb461, v129
	v_mul_f16_e64 v172, 0x39e9, v93
	;; [unrolled: 1-line block ×3, first 2 shown]
	v_add_f16_e32 v105, v110, v105
	v_sub_f16_e64 v110, v163, v175
	v_add_f16_e32 v104, v104, v103
	v_add_f16_e64 v107, v170, v107
	v_add_f16_e64 v103, v106, v147
	v_fma_f16 v106, 0x3bb2, v87, v177
	v_mul_f16_e64 v178, 0xbacd, v133
	v_mul_f16_e64 v174, 0xbbdd, v96
	v_add_f16_e32 v105, v110, v105
	v_add_f16_e32 v104, v107, v104
	v_add_f16_e64 v107, v172, v121
	v_sub_f16_e64 v110, v162, v179
	v_add_f16_e32 v106, v72, v106
	v_fma_f16 v121, 0xb836, v90, v178
	v_mul_f16_e64 v179, 0x39e9, v137
	v_mul_f16_e64 v176, 0x3722, v97
	v_add_f16_e32 v107, v107, v104
	v_add_f16_e64 v147, v174, v159
	v_add_f16_e32 v104, v110, v105
	v_add_f16_e32 v105, v121, v106
	v_fma_f16 v106, 0xb964, v89, v179
	v_mul_f16_e64 v180, 0x3722, v139
	v_add_f16_e64 v107, v147, v107
	v_add_f16_e64 v110, v176, v160
	v_mul_f16_e64 v172, 0xbbb2, v111
	v_add_f16_e32 v106, v106, v105
	v_fma_f16 v121, 0x3b29, v91, v180
	v_mul_f16_e64 v188, 0xbbdd, v148
	v_add_f16_e32 v105, v110, v107
	v_fma_f16 v107, 0xb461, v84, v172
	;; [unrolled: 3-line block ×14, first 2 shown]
	v_mul_f16_e64 v165, 0xba62, v120
	v_add_f16_e64 v110, v147, v110
	v_fma_f16 v147, 0xbbb2, v89, v174
	v_mul_f16_e64 v175, 0x3b76, v139
	v_add_f16_e32 v107, v121, v107
	v_fma_f16 v121, 0xb8d2, v97, v165
	v_mul_f16_e64 v195, 0xbbf7, v111
	v_add_f16_e64 v110, v147, v110
	v_fma_f16 v147, 0xb5c8, v91, v175
	v_mul_f16_e64 v186, 0x3722, v148
	v_add_f16_e32 v107, v121, v107
	v_fma_f16 v121, 0x2de8, v84, v195
	v_mul_f16_e64 v196, 0xb1e1, v113
	v_add_f16_e64 v110, v147, v110
	v_fma_f16 v147, 0x3b29, v94, v186
	v_mul_f16_e64 v187, 0xbacd, v154
	v_add_f16_e32 v121, v24, v121
	v_fma_f16 v161, 0xbbdd, v85, v196
	v_mul_f16_e64 v197, 0x3bb2, v108
	v_add_f16_e64 v110, v147, v110
	v_fma_f16 v147, 0x3836, v95, v187
	v_mul_f16_e64 v190, 0xb8d2, v138
	v_add_f16_e64 v121, v161, v121
	v_fma_f16 v161, 0xb461, v86, v197
	;; [unrolled: 3-line block ×41, first 2 shown]
	v_mul_f16_e64 v215, 0x2de8, v139
	v_mul_f16_e64 v129, 0x3b76, v131
	v_add_f16_e64 v227, v227, v216
	v_fma_f16 v229, 0x3722, v96, v137
	v_add_f16_e64 v226, v228, v226
	v_fma_f16 v228, 0x3bf7, v91, v215
	v_mul_f16_e64 v216, 0xb461, v148
	v_mul_f16_e64 v139, 0x35c8, v120
	v_fma_f16 v148, 0xb5c8, v99, v129
	v_add_f16_e64 v227, v229, v227
	v_add_f16_e64 v226, v228, v226
	v_fma_f16 v228, 0x3bb2, v94, v216
	v_mul_f16_e64 v154, 0xb8d2, v154
	v_fma_f16 v229, 0x3b76, v97, v139
	v_mul_f16_e64 v230, 0xb5c8, v111
	v_add_f16_e32 v25, v25, v24
	v_add_f16_e64 v111, v148, v225
	v_add_f16_e64 v225, v228, v226
	v_fma_f16 v226, 0x3a62, v95, v154
	v_add_f16_e64 v148, v229, v227
	v_fma_f16 v227, 0x3b76, v84, v230
	v_mul_f16_e32 v113, 0xb964, v113
	v_add_f16_e32 v25, v26, v25
	v_add_f16_e32 v26, v83, v72
	v_add_f16_e64 v225, v226, v225
	v_add_f16_e64 v226, v24, v227
	v_fma_f16 v227, 0x39e9, v85, v113
	v_mul_f16_e32 v83, 0xbb29, v108
	v_add_f16_e32 v25, v27, v25
	v_add_f16_e32 v26, v82, v26
	v_mul_f16_e32 v82, 0xbbf7, v109
	v_add_f16_e64 v226, v227, v226
	v_fmamk_f16 v27, v86, 0x3722, v83
	v_add_f16_e32 v25, v34, v25
	v_add_f16_e32 v26, v73, v26
	v_fmamk_f16 v34, v88, 0x2de8, v82
	v_mul_f16_e32 v73, 0xbbb2, v112
	v_add_f16_e64 v27, v27, v226
	v_add_f16_e32 v25, v35, v25
	v_add_f16_e32 v26, v79, v26
	v_fmac_f16_e64 v135, 0xb1e1, v87
	v_fmac_f16_e32 v122, 0x35c8, v90
	v_add_f16_e32 v27, v34, v27
	v_fmamk_f16 v34, v92, 0xb461, v73
	v_add_f16_e32 v25, v30, v25
	v_add_f16_e32 v26, v78, v26
	v_mul_f16_e32 v30, 0xba62, v114
	v_fmac_f16_e32 v123, 0xb836, v89
	v_add_f16_e32 v27, v34, v27
	v_add_f16_e32 v25, v31, v25
	;; [unrolled: 1-line block ×3, first 2 shown]
	v_fmamk_f16 v31, v93, 0xb8d2, v30
	v_mul_f16_e32 v34, 0xb836, v115
	v_fmac_f16_e32 v124, 0x3964, v91
	v_add_f16_e32 v25, v32, v25
	v_add_f16_e32 v26, v81, v26
	;; [unrolled: 1-line block ×3, first 2 shown]
	v_fmamk_f16 v31, v96, 0xbacd, v34
	v_mul_f16_e32 v32, 0xb1e1, v120
	v_add_f16_e32 v25, v33, v25
	v_add_f16_e32 v26, v80, v26
	v_fmac_f16_e32 v125, 0xba62, v94
	v_add_f16_e32 v27, v31, v27
	v_fmamk_f16 v31, v97, 0xbbdd, v32
	v_add_f16_e32 v25, v28, v25
	v_add_f16_e32 v26, v75, v26
	v_add_f16_e64 v28, v72, v135
	v_fmac_f16_e64 v130, 0x3b29, v95
	v_add_f16_e32 v27, v31, v27
	v_fma_f16 v31, v84, 0xbbdd, -v140
	v_add_f16_e32 v25, v29, v25
	v_add_f16_e32 v26, v76, v26
	;; [unrolled: 1-line block ×3, first 2 shown]
	v_fmac_f16_e64 v128, 0xb836, v87
	v_add_f16_e32 v29, v24, v31
	v_fma_f16 v31, v85, 0x3b76, -v142
	v_add_f16_e32 v19, v19, v25
	v_add_f16_e32 v25, v74, v26
	;; [unrolled: 1-line block ×3, first 2 shown]
	v_fmac_f16_e32 v116, 0x3b29, v90
	v_add_f16_e32 v28, v31, v29
	v_fma_f16 v29, v86, 0xbacd, -v143
	v_add_f16_e32 v19, v20, v19
	v_add_f16_e32 v20, v47, v25
	;; [unrolled: 1-line block ×3, first 2 shown]
	v_fmac_f16_e64 v177, 0xbbb2, v87
	v_add_f16_e32 v26, v29, v28
	v_fma_f16 v28, v88, 0x39e9, -v146
	v_add_f16_e32 v17, v17, v19
	v_add_f16_e32 v19, v46, v20
	v_add_f16_e32 v20, v125, v25
	v_fma_f16 v29, v85, 0x3722, -v151
	v_add_f16_e32 v25, v28, v26
	v_fma_f16 v26, v92, 0xb8d2, -v153
	v_add_f16_e32 v17, v18, v17
	v_add_f16_e32 v18, v44, v19
	v_add_f16_e64 v19, v130, v20
	v_add_f16_e64 v28, v72, v128
	v_add_f16_e32 v20, v26, v25
	v_fma_f16 v25, v93, 0x3722, -v155
	v_fma_f16 v26, v84, 0xbacd, -v149
	v_fmac_f16_e64 v178, 0x3836, v90
	v_fmac_f16_e64 v179, 0x3964, v89
	;; [unrolled: 1-line block ×3, first 2 shown]
	v_add_f16_e32 v20, v25, v20
	v_fma_f16 v25, v96, 0xb461, -v156
	v_add_f16_e32 v26, v24, v26
	v_fmac_f16_e64 v188, 0xb1e1, v94
	v_fmac_f16_e64 v189, 0x3bf7, v95
	;; [unrolled: 1-line block ×3, first 2 shown]
	v_add_f16_e32 v20, v25, v20
	v_fma_f16 v25, v97, 0x2de8, -v141
	v_add_f16_e32 v26, v29, v26
	v_add_f16_e64 v29, v72, v177
	v_fma_f16 v31, v84, 0xb461, -v172
	v_fmac_f16_e64 v191, 0xbbf7, v87
	v_add_f16_e32 v20, v25, v20
	v_add_f16_e32 v25, v116, v28
	v_fma_f16 v28, v86, 0x2de8, -v144
	v_add_f16_e64 v29, v178, v29
	v_add_f16_e64 v33, v72, v191
	v_fmac_f16_e64 v173, 0xb1e1, v90
	v_add_f16_e32 v17, v42, v17
	v_add_f16_e32 v26, v28, v26
	v_fma_f16 v28, v88, 0xb8d2, -v145
	v_add_f16_e64 v29, v179, v29
	v_fma_f16 v42, v84, 0x2de8, -v195
	v_add_f16_e64 v33, v173, v33
	v_fmac_f16_e64 v174, 0x3bb2, v89
	v_add_f16_e32 v26, v28, v26
	v_fma_f16 v28, v92, 0x3b76, -v152
	v_add_f16_e64 v29, v180, v29
	v_add_f16_e32 v18, v43, v18
	v_add_f16_e32 v42, v24, v42
	v_fma_f16 v43, v85, 0xbbdd, -v196
	v_add_f16_e32 v26, v28, v26
	v_fma_f16 v28, v93, 0xbbdd, -v150
	v_add_f16_e64 v29, v188, v29
	v_add_f16_e64 v33, v174, v33
	v_fmac_f16_e64 v175, 0x35c8, v91
	v_add_f16_e32 v42, v43, v42
	v_add_f16_e32 v26, v28, v26
	v_fma_f16 v28, v96, 0x39e9, -v157
	v_add_f16_e64 v29, v189, v29
	v_fma_f16 v43, v86, 0xb461, -v197
	v_add_f16_e64 v33, v175, v33
	v_fmac_f16_e64 v186, 0xbb29, v94
	v_add_f16_e32 v26, v28, v26
	v_fma_f16 v28, v97, 0xb461, -v158
	v_add_f16_e32 v42, v43, v42
	v_fma_f16 v43, v88, 0x3b76, -v201
	v_add_f16_e64 v33, v186, v33
	v_fmac_f16_e64 v187, 0xb836, v95
	v_add_f16_e32 v26, v28, v26
	v_add_f16_e64 v28, v170, v29
	v_add_f16_e32 v29, v24, v31
	v_fma_f16 v31, v85, 0xbacd, -v166
	v_add_f16_e32 v42, v43, v42
	v_fma_f16 v43, v92, 0x3722, -v202
	v_add_f16_e64 v33, v187, v33
	v_fmac_f16_e64 v190, 0x3a62, v98
	v_add_f16_e32 v29, v31, v29
	v_fma_f16 v31, v86, 0x39e9, -v159
	v_add_f16_e32 v42, v43, v42
	v_fma_f16 v43, v93, 0xbacd, -v209
	v_add_f16_e64 v33, v190, v33
	v_fmac_f16_e64 v185, 0x3964, v99
	v_add_f16_e32 v29, v31, v29
	v_fma_f16 v31, v88, 0x3722, -v160
	v_add_f16_e32 v42, v43, v42
	v_fma_f16 v43, v96, 0xb8d2, -v211
	v_fmac_f16_e64 v181, 0xbb29, v87
	v_add_f16_e32 v18, v45, v18
	v_add_f16_e32 v29, v31, v29
	v_fma_f16 v31, v92, 0xbbdd, -v162
	v_add_f16_e32 v42, v43, v42
	v_fma_f16 v43, v97, 0x39e9, -v192
	v_add_f16_e64 v44, v72, v181
	v_fmac_f16_e64 v167, 0xba62, v90
	v_add_f16_e32 v29, v31, v29
	v_fma_f16 v31, v93, 0x2de8, -v163
	v_fma_f16 v45, v85, 0xb8d2, -v210
	v_fmac_f16_e64 v218, 0xb964, v87
	v_add_f16_e32 v42, v43, v42
	v_add_f16_e64 v43, v167, v44
	v_add_f16_e32 v29, v31, v29
	v_fma_f16 v31, v96, 0x3b76, -v164
	v_fma_f16 v44, v86, 0xbbdd, -v198
	v_fmac_f16_e64 v219, 0xbbf7, v90
	v_fmac_f16_e64 v220, 0xba62, v89
	;; [unrolled: 1-line block ×3, first 2 shown]
	v_add_f16_e32 v29, v31, v29
	v_fma_f16 v31, v97, 0xb8d2, -v165
	v_fmac_f16_e64 v222, 0x3836, v94
	v_fmac_f16_e64 v223, 0x3bb2, v95
	;; [unrolled: 1-line block ×4, first 2 shown]
	v_add_f16_e32 v29, v31, v29
	v_add_f16_e64 v31, v185, v33
	v_fma_f16 v33, v84, 0x3722, -v208
	v_fma_f16 v46, v84, 0x39e9, -v217
	v_add_f16_e64 v47, v72, v224
	v_fmac_f16_e64 v212, 0xb964, v90
	v_fmac_f16_e32 v117, 0xbbf7, v89
	v_add_f16_e32 v33, v24, v33
	v_fmac_f16_e64 v168, 0x31e1, v89
	v_fmac_f16_e64 v214, 0xbb29, v89
	v_add_f16_e64 v47, v212, v47
	v_add_f16_e32 v25, v117, v25
	v_add_f16_e32 v33, v45, v33
	v_add_f16_e64 v45, v72, v218
	v_fma_f16 v72, v84, 0x3b76, -v230
	v_fmac_f16_e32 v118, 0x3a62, v91
	v_add_f16_e64 v43, v168, v43
	v_add_f16_e32 v33, v44, v33
	v_fma_f16 v44, v88, 0xb461, -v199
	v_add_f16_e64 v45, v219, v45
	v_fmac_f16_e64 v169, 0x3bb2, v91
	v_add_f16_e64 v47, v214, v47
	v_fmac_f16_e64 v215, 0xbbf7, v91
	v_add_f16_e32 v33, v44, v33
	v_fma_f16 v44, v92, 0x39e9, -v200
	v_add_f16_e64 v45, v220, v45
	v_mul_f16_e64 v138, 0xbacd, v138
	v_add_f16_e32 v25, v118, v25
	v_fmac_f16_e32 v119, 0xb5c8, v94
	v_add_f16_e32 v33, v44, v33
	v_fma_f16 v44, v93, 0x3b76, -v205
	v_add_f16_e64 v45, v221, v45
	v_add_f16_e64 v43, v169, v43
	v_fmac_f16_e64 v182, 0x3964, v94
	v_add_f16_e64 v47, v215, v47
	v_add_f16_e32 v33, v44, v33
	v_fma_f16 v44, v96, 0x2de8, -v206
	v_add_f16_e64 v45, v222, v45
	v_fmac_f16_e64 v216, 0xbbb2, v94
	v_fma_f16 v108, 0x3836, v98, v138
	v_mul_f16_e64 v35, 0xbbdd, v131
	v_add_f16_e32 v33, v44, v33
	v_fma_f16 v44, v97, 0xbacd, -v207
	v_add_f16_e64 v45, v223, v45
	v_add_f16_e32 v25, v119, v25
	v_fmac_f16_e32 v126, 0xb1e1, v95
	v_add_f16_e64 v43, v182, v43
	v_add_f16_e32 v33, v44, v33
	v_add_f16_e64 v44, v213, v45
	v_add_f16_e32 v45, v24, v46
	v_fma_f16 v46, v85, 0x2de8, -v204
	v_add_f16_e32 v24, v24, v72
	v_fma_f16 v72, v85, 0x39e9, -v113
	v_fmac_f16_e64 v183, 0xb5c8, v95
	v_add_f16_e64 v47, v216, v47
	v_add_f16_e32 v45, v46, v45
	v_fma_f16 v46, v86, 0xb8d2, -v193
	v_add_f16_e32 v24, v72, v24
	v_fma_f16 v72, v86, 0x3722, -v83
	v_fmac_f16_e64 v154, 0xba62, v95
	v_fma_f16 v30, v93, 0xb8d2, -v30
	v_add_f16_e32 v45, v46, v45
	v_fma_f16 v46, v88, 0xbbdd, -v194
	v_add_f16_e32 v24, v72, v24
	v_fma_f16 v72, v88, 0x2de8, -v82
	v_add_f16_e64 v108, v108, v225
	v_fmamk_f16 v78, v99, 0x31e1, v35
	v_add_f16_e32 v45, v46, v45
	v_fma_f16 v46, v92, 0xbacd, -v203
	v_add_f16_e32 v24, v72, v24
	v_fma_f16 v72, v92, 0xb461, -v73
	v_fmac_f16_e64 v132, 0xbbb2, v98
	v_add_f16_e32 v25, v126, v25
	v_add_f16_e32 v45, v46, v45
	v_fma_f16 v46, v93, 0xb461, -v133
	v_add_f16_e32 v24, v72, v24
	v_fmac_f16_e32 v127, 0x3964, v98
	v_add_f16_e64 v43, v183, v43
	v_fmac_f16_e64 v184, 0xbbf7, v98
	v_add_f16_e32 v45, v46, v45
	v_fma_f16 v46, v96, 0x3722, -v137
	v_add_f16_e64 v47, v154, v47
	v_fmac_f16_e64 v138, 0xb836, v98
	v_add_f16_e32 v24, v30, v24
	v_fma_f16 v30, v96, 0xbacd, -v34
	v_add_f16_e32 v77, v78, v108
	v_add_f16_e64 v19, v132, v19
	v_fmac_f16_e64 v134, 0x3bf7, v99
	v_and_b32_e32 v40, 0xffff, v40
	v_add_f16_e32 v25, v127, v25
	v_fmac_f16_e64 v136, 0xbbb2, v99
	v_fmac_f16_e64 v171, 0xba62, v99
	;; [unrolled: 1-line block ×3, first 2 shown]
	v_add_f16_e32 v45, v46, v45
	v_fma_f16 v46, v97, 0x3b76, -v139
	v_add_f16_e64 v43, v184, v43
	v_fmac_f16_e64 v176, 0xb836, v99
	v_add_f16_e64 v47, v138, v47
	v_fmac_f16_e32 v35, 0xb1e1, v99
	v_add_f16_e32 v24, v30, v24
	v_fma_f16 v30, v97, 0xbbdd, -v32
	v_add_f16_e64 v19, v134, v19
	v_lshl_add_u32 v32, v40, 2, v39
	v_pack_b32_f16 v27, v27, v77
	v_pack_b32_f16 v17, v17, v18
	v_add_f16_e64 v25, v136, v25
	v_pack_b32_f16 v18, v161, v147
	v_pack_b32_f16 v39, v148, v111
	v_add_f16_e64 v28, v171, v28
	v_add_f16_e64 v34, v129, v44
	v_add_f16_e32 v44, v46, v45
	v_pack_b32_f16 v40, v107, v106
	v_pack_b32_f16 v45, v121, v110
	v_add_f16_e64 v43, v176, v43
	v_add_f16_e32 v35, v35, v47
	v_pack_b32_f16 v46, v105, v104
	v_pack_b32_f16 v47, v103, v102
	v_add_f16_e32 v24, v30, v24
	ds_store_2addr_b32 v32, v17, v27 offset1:1
	ds_store_2addr_b32 v32, v39, v18 offset0:2 offset1:3
	ds_store_2addr_b32 v32, v45, v40 offset0:4 offset1:5
	;; [unrolled: 1-line block ×3, first 2 shown]
	v_pack_b32_f16 v17, v20, v19
	v_pack_b32_f16 v18, v101, v100
	;; [unrolled: 1-line block ×3, first 2 shown]
	v_perm_b32 v20, v71, v23, 0x5040100
	v_pack_b32_f16 v25, v42, v31
	v_pack_b32_f16 v26, v29, v28
	;; [unrolled: 1-line block ×5, first 2 shown]
	ds_store_2addr_b32 v32, v18, v17 offset0:8 offset1:9
	ds_store_2addr_b32 v32, v19, v20 offset0:10 offset1:11
	ds_store_2addr_b32 v32, v26, v25 offset0:12 offset1:13
	ds_store_2addr_b32 v32, v28, v27 offset0:14 offset1:15
	ds_store_b32 v32, v24 offset:64
.LBB0_17:
	s_or_b32 exec_lo, exec_lo, s1
	v_add_nc_u32_e32 v19, 0x200, v41
	s_waitcnt lgkmcnt(0)
	s_barrier
	buffer_gl0_inv
	ds_load_2addr_b32 v[17:18], v41 offset1:102
	ds_load_2addr_b32 v[19:20], v19 offset0:76 offset1:178
	v_add_nc_u32_e32 v24, 0x400, v41
	v_add_nc_u32_e32 v26, 0x800, v41
	;; [unrolled: 1-line block ×3, first 2 shown]
	ds_load_b32 v30, v41 offset:4080
	ds_load_2addr_b32 v[24:25], v24 offset0:152 offset1:254
	ds_load_2addr_b32 v[26:27], v26 offset0:100 offset1:202
	;; [unrolled: 1-line block ×3, first 2 shown]
	s_waitcnt lgkmcnt(0)
	s_barrier
	buffer_gl0_inv
	v_lshrrev_b32_e32 v32, 16, v18
	v_mul_f16_e32 v34, v70, v18
	v_lshrrev_b32_e32 v35, 16, v19
	v_lshrrev_b32_e32 v39, 16, v20
	;; [unrolled: 1-line block ×4, first 2 shown]
	v_mul_f16_e32 v47, v70, v32
	v_fma_f16 v32, v4, v32, -v34
	v_mul_f16_e32 v34, v68, v19
	v_mul_f16_e32 v70, v69, v20
	;; [unrolled: 1-line block ×4, first 2 shown]
	v_lshrrev_b32_e32 v40, 16, v24
	v_fmac_f16_e32 v47, v4, v18
	v_fma_f16 v18, v5, v35, -v34
	v_fmac_f16_e32 v68, v5, v19
	v_fmac_f16_e32 v69, v6, v20
	v_fma_f16 v5, v6, v39, -v70
	v_mul_f16_e32 v6, v65, v42
	v_lshrrev_b32_e32 v43, 16, v26
	v_mul_f16_e32 v4, v67, v40
	v_mul_f16_e32 v20, v65, v25
	;; [unrolled: 1-line block ×3, first 2 shown]
	v_fmac_f16_e32 v6, v0, v25
	v_add_f16_e32 v25, v31, v32
	v_fmac_f16_e32 v4, v7, v24
	v_add_f16_e32 v19, v17, v47
	v_mul_f16_e32 v24, v63, v43
	v_fma_f16 v0, v0, v42, -v20
	v_mul_f16_e32 v20, v63, v26
	v_add_f16_e32 v25, v25, v18
	v_lshrrev_b32_e32 v44, 16, v27
	v_fma_f16 v7, v7, v40, -v72
	v_add_f16_e32 v19, v19, v68
	v_fmac_f16_e32 v24, v1, v26
	v_fma_f16 v1, v1, v43, -v20
	v_add_f16_e32 v20, v25, v5
	v_lshrrev_b32_e32 v45, 16, v28
	v_add_f16_e32 v19, v19, v69
	v_mul_f16_e32 v26, v62, v44
	v_lshrrev_b32_e32 v46, 16, v29
	v_add_f16_e32 v20, v20, v7
	v_mul_f16_e32 v34, v62, v27
	v_add_f16_e32 v19, v19, v4
	v_fmac_f16_e32 v26, v2, v27
	v_mul_f16_e32 v25, v59, v45
	v_mul_f16_e32 v27, v59, v28
	v_add_f16_e32 v20, v20, v0
	v_lshrrev_b32_e32 v33, 16, v30
	v_fma_f16 v2, v2, v44, -v34
	v_add_f16_e32 v19, v19, v6
	v_mul_f16_e32 v34, v56, v46
	v_fmac_f16_e32 v25, v3, v28
	v_fma_f16 v3, v3, v45, -v27
	v_mul_f16_e32 v27, v57, v30
	v_add_f16_e32 v20, v20, v1
	v_add_f16_e32 v19, v19, v24
	v_fmac_f16_e32 v34, v21, v29
	v_mul_f16_e32 v28, v56, v29
	v_mul_f16_e32 v29, v57, v33
	v_fma_f16 v27, v22, v33, -v27
	v_add_f16_e32 v20, v20, v2
	v_add_f16_e32 v19, v19, v26
	v_fma_f16 v21, v21, v46, -v28
	v_fmac_f16_e32 v29, v22, v30
	v_sub_f16_e32 v22, v32, v27
	v_add_f16_e32 v20, v20, v3
	v_add_f16_e32 v19, v19, v25
	;; [unrolled: 1-line block ×4, first 2 shown]
	v_mul_f16_e32 v32, 0xb853, v22
	v_add_f16_e32 v20, v20, v21
	v_sub_f16_e32 v65, v18, v21
	v_add_f16_e32 v19, v19, v34
	v_sub_f16_e32 v33, v47, v29
	v_mul_f16_e32 v35, 0x3abb, v28
	v_fmamk_f16 v39, v30, 0x3abb, v32
	v_add_f16_e32 v27, v20, v27
	v_mul_f16_e32 v20, 0xbb47, v22
	v_mul_f16_e32 v42, 0x36a6, v28
	;; [unrolled: 1-line block ×8, first 2 shown]
	v_add_f16_e32 v70, v68, v34
	v_mul_f16_e32 v72, 0xbb47, v65
	v_add_f16_e32 v18, v18, v21
	v_add_f16_e32 v29, v19, v29
	v_fmamk_f16 v19, v33, 0x3853, v35
	v_add_f16_e32 v39, v17, v39
	v_fma_f16 v32, v30, 0x3abb, -v32
	v_fmac_f16_e32 v35, 0xb853, v33
	v_fmamk_f16 v40, v30, 0x36a6, v20
	v_fmamk_f16 v44, v33, 0x3b47, v42
	v_fma_f16 v20, v30, 0x36a6, -v20
	v_fmac_f16_e32 v42, 0xbb47, v33
	v_fmamk_f16 v45, v30, 0xb08e, v43
	v_fmamk_f16 v47, v33, 0x3beb, v46
	;; [unrolled: 4-line block ×4, first 2 shown]
	v_fma_f16 v21, v30, 0xbbad, -v22
	v_fmac_f16_e32 v28, 0xb482, v33
	v_sub_f16_e32 v22, v68, v34
	v_fmamk_f16 v30, v70, 0x36a6, v72
	v_mul_f16_e32 v33, 0x36a6, v18
	v_add_f16_e32 v19, v31, v19
	v_add_f16_e32 v32, v17, v32
	;; [unrolled: 1-line block ×20, first 2 shown]
	v_fmamk_f16 v30, v22, 0x3b47, v33
	v_mul_f16_e32 v31, 0xba0c, v65
	v_fma_f16 v39, v70, 0x36a6, -v72
	v_fmac_f16_e32 v33, 0xbb47, v22
	v_mul_f16_e32 v67, 0xb93d, v18
	v_add_f16_e32 v19, v30, v19
	v_fmamk_f16 v30, v70, 0xb93d, v31
	v_add_f16_e32 v32, v39, v32
	v_add_f16_e32 v33, v33, v35
	v_fmamk_f16 v35, v22, 0x3a0c, v67
	v_mul_f16_e32 v39, 0x3482, v65
	v_add_f16_e32 v30, v30, v40
	v_fma_f16 v31, v70, 0xb93d, -v31
	v_fmac_f16_e32 v67, 0xba0c, v22
	v_add_f16_e32 v35, v35, v44
	v_fmamk_f16 v40, v70, 0xbbad, v39
	v_mul_f16_e32 v44, 0xbbad, v18
	v_add_f16_e32 v20, v31, v20
	v_add_f16_e32 v31, v67, v42
	v_mul_f16_e32 v42, 0x3beb, v65
	v_add_f16_e32 v40, v40, v45
	v_fmamk_f16 v45, v22, 0xb482, v44
	v_fma_f16 v39, v70, 0xbbad, -v39
	v_fmac_f16_e32 v44, 0x3482, v22
	v_mul_f16_e32 v68, 0xb08e, v18
	v_fmamk_f16 v67, v70, 0xb08e, v42
	v_mul_f16_e32 v18, 0x3abb, v18
	v_add_f16_e32 v39, v39, v43
	v_add_f16_e32 v43, v44, v46
	v_fmamk_f16 v46, v22, 0xbbeb, v68
	v_fma_f16 v42, v70, 0xb08e, -v42
	v_fmac_f16_e32 v68, 0x3beb, v22
	v_add_f16_e32 v45, v45, v47
	v_mul_f16_e32 v47, 0x3853, v65
	v_add_f16_e32 v46, v46, v62
	v_fmamk_f16 v62, v22, 0xb853, v18
	v_add_f16_e32 v42, v42, v56
	v_add_f16_e32 v56, v68, v57
	v_sub_f16_e32 v57, v5, v3
	v_add_f16_e32 v3, v5, v3
	v_add_f16_e32 v44, v67, v59
	v_fmamk_f16 v59, v70, 0x3abb, v47
	v_add_f16_e32 v34, v62, v34
	v_add_f16_e32 v62, v69, v25
	v_mul_f16_e32 v5, 0xbbeb, v57
	v_fma_f16 v47, v70, 0x3abb, -v47
	v_fmac_f16_e32 v18, 0x3853, v22
	v_sub_f16_e32 v22, v69, v25
	v_mul_f16_e32 v25, 0xb08e, v3
	v_add_f16_e32 v59, v59, v63
	v_fmamk_f16 v63, v62, 0xb08e, v5
	v_add_f16_e32 v17, v47, v17
	v_add_f16_e32 v18, v18, v21
	v_mul_f16_e32 v21, 0x3482, v57
	v_fmamk_f16 v47, v22, 0x3beb, v25
	v_fma_f16 v5, v62, 0xb08e, -v5
	v_add_f16_e32 v28, v63, v28
	v_fmac_f16_e32 v25, 0xbbeb, v22
	v_fmamk_f16 v63, v62, 0xbbad, v21
	v_add_f16_e32 v19, v47, v19
	v_mul_f16_e32 v47, 0xbbad, v3
	v_add_f16_e32 v5, v5, v32
	v_mul_f16_e32 v32, 0x3b47, v57
	v_add_f16_e32 v25, v25, v33
	v_add_f16_e32 v30, v63, v30
	v_fmamk_f16 v33, v22, 0xb482, v47
	v_fma_f16 v21, v62, 0xbbad, -v21
	v_fmac_f16_e32 v47, 0x3482, v22
	v_mul_f16_e32 v63, 0x36a6, v3
	v_fmamk_f16 v65, v62, 0x36a6, v32
	v_add_f16_e32 v33, v33, v35
	v_add_f16_e32 v20, v21, v20
	;; [unrolled: 1-line block ×3, first 2 shown]
	v_fmamk_f16 v31, v22, 0xbb47, v63
	v_add_f16_e32 v35, v65, v40
	v_mul_f16_e32 v40, 0xb853, v57
	v_fma_f16 v32, v62, 0x36a6, -v32
	v_fmac_f16_e32 v63, 0x3b47, v22
	v_add_f16_e32 v31, v31, v45
	v_mul_f16_e32 v45, 0x3abb, v3
	v_fmamk_f16 v47, v62, 0x3abb, v40
	v_add_f16_e32 v32, v32, v39
	v_add_f16_e32 v39, v63, v43
	v_mul_f16_e32 v43, 0xba0c, v57
	v_fmamk_f16 v57, v22, 0x3853, v45
	v_add_f16_e32 v44, v47, v44
	v_fma_f16 v40, v62, 0x3abb, -v40
	v_fmac_f16_e32 v45, 0xb853, v22
	v_fmamk_f16 v47, v62, 0xb93d, v43
	v_mul_f16_e32 v3, 0xb93d, v3
	v_add_f16_e32 v46, v57, v46
	v_add_f16_e32 v40, v40, v42
	;; [unrolled: 1-line block ×4, first 2 shown]
	v_sub_f16_e32 v47, v7, v2
	v_add_f16_e32 v2, v7, v2
	v_fmamk_f16 v56, v22, 0x3a0c, v3
	v_fma_f16 v43, v62, 0xb93d, -v43
	v_add_f16_e32 v7, v4, v26
	v_mul_f16_e32 v57, 0xba0c, v47
	v_fmac_f16_e32 v3, 0xba0c, v22
	v_sub_f16_e32 v4, v4, v26
	v_mul_f16_e32 v22, 0xb93d, v2
	v_add_f16_e32 v26, v56, v34
	v_fmamk_f16 v34, v7, 0xb93d, v57
	v_add_f16_e32 v17, v43, v17
	v_add_f16_e32 v3, v3, v18
	v_fmamk_f16 v18, v4, 0x3a0c, v22
	v_mul_f16_e32 v43, 0x3beb, v47
	v_fmac_f16_e32 v22, 0xba0c, v4
	v_add_f16_e32 v28, v34, v28
	v_fma_f16 v34, v7, 0xb93d, -v57
	v_add_f16_e32 v18, v18, v19
	v_fmamk_f16 v19, v7, 0xb08e, v43
	v_mul_f16_e32 v56, 0xb08e, v2
	v_add_f16_e32 v25, v22, v25
	v_mul_f16_e32 v22, 0xb853, v47
	v_add_f16_e32 v5, v34, v5
	v_add_f16_e32 v30, v19, v30
	v_fmamk_f16 v19, v4, 0xbbeb, v56
	v_fma_f16 v34, v7, 0xb08e, -v43
	v_fmamk_f16 v43, v7, 0x3abb, v22
	v_mul_f16_e32 v57, 0x3abb, v2
	v_fma_f16 v22, v7, 0x3abb, -v22
	v_add_f16_e32 v33, v19, v33
	v_add_f16_e32 v20, v34, v20
	;; [unrolled: 1-line block ×3, first 2 shown]
	v_fmamk_f16 v19, v4, 0x3853, v57
	v_mul_f16_e32 v35, 0xb482, v47
	v_mul_f16_e32 v43, 0xbbad, v2
	v_add_f16_e32 v32, v22, v32
	v_mul_f16_e32 v47, 0x3b47, v47
	v_add_f16_e32 v31, v19, v31
	v_fmamk_f16 v19, v7, 0xbbad, v35
	v_fmamk_f16 v22, v4, 0x3482, v43
	v_fmac_f16_e32 v43, 0xb482, v4
	v_mul_f16_e32 v2, 0x36a6, v2
	v_fmac_f16_e32 v56, 0x3beb, v4
	v_add_f16_e32 v44, v19, v44
	v_fma_f16 v19, v7, 0xbbad, -v35
	v_add_f16_e32 v42, v43, v42
	v_sub_f16_e32 v43, v0, v1
	v_add_f16_e32 v0, v0, v1
	v_fmac_f16_e32 v57, 0xb853, v4
	v_add_f16_e32 v35, v22, v46
	v_fmamk_f16 v22, v7, 0x36a6, v47
	v_add_f16_e32 v40, v19, v40
	v_fmamk_f16 v19, v4, 0xbb47, v2
	v_add_f16_e32 v46, v6, v24
	v_fma_f16 v7, v7, 0x36a6, -v47
	v_fmac_f16_e32 v2, 0x3b47, v4
	v_sub_f16_e32 v4, v6, v24
	v_mul_f16_e32 v6, 0xbbad, v0
	v_mul_f16_e32 v1, 0xb482, v43
	v_add_f16_e32 v7, v7, v17
	v_add_f16_e32 v17, v2, v3
	;; [unrolled: 1-line block ×3, first 2 shown]
	v_fmamk_f16 v2, v4, 0x3482, v6
	v_fmamk_f16 v22, v46, 0xbbad, v1
	v_mul_f16_e32 v3, 0x3853, v43
	v_fma_f16 v1, v46, 0xbbad, -v1
	v_add_f16_e32 v21, v56, v21
	v_add_f16_e32 v18, v2, v18
	v_mul_f16_e32 v2, 0x3abb, v0
	v_add_f16_e32 v28, v22, v28
	v_fmac_f16_e32 v6, 0xb482, v4
	v_fmamk_f16 v24, v46, 0x3abb, v3
	v_add_f16_e32 v22, v1, v5
	v_mul_f16_e32 v1, 0xba0c, v43
	v_fmamk_f16 v5, v4, 0xb853, v2
	v_fma_f16 v3, v46, 0x3abb, -v3
	v_fmac_f16_e32 v2, 0x3853, v4
	v_add_f16_e32 v26, v19, v26
	v_add_f16_e32 v19, v6, v25
	;; [unrolled: 1-line block ×3, first 2 shown]
	v_fmamk_f16 v24, v46, 0xb93d, v1
	v_mul_f16_e32 v25, 0xb93d, v0
	v_add_f16_e32 v3, v3, v20
	v_add_f16_e32 v20, v2, v21
	v_mul_f16_e32 v21, 0x3b47, v43
	v_add_f16_e32 v39, v57, v39
	v_add_f16_e32 v5, v5, v33
	;; [unrolled: 1-line block ×3, first 2 shown]
	v_fmamk_f16 v2, v4, 0x3a0c, v25
	v_fma_f16 v1, v46, 0xb93d, -v1
	v_fmac_f16_e32 v25, 0xba0c, v4
	v_mul_f16_e32 v33, 0x36a6, v0
	v_fmamk_f16 v34, v46, 0x36a6, v21
	v_add_f16_e32 v31, v2, v31
	v_add_f16_e32 v2, v1, v32
	;; [unrolled: 1-line block ×3, first 2 shown]
	v_fmamk_f16 v1, v4, 0xbb47, v33
	v_add_f16_e32 v32, v34, v44
	v_mul_f16_e32 v25, 0xbbeb, v43
	v_fma_f16 v21, v46, 0x36a6, -v21
	v_mul_f16_e32 v34, 0xb08e, v0
	v_add_f16_e32 v35, v1, v35
	v_fmac_f16_e32 v33, 0x3b47, v4
	v_fmamk_f16 v0, v46, 0xb08e, v25
	v_add_f16_e32 v1, v21, v40
	v_fmamk_f16 v21, v4, 0x3beb, v34
	v_fma_f16 v39, v46, 0xb08e, -v25
	v_fmac_f16_e32 v34, 0xbbeb, v4
	v_add_f16_e32 v25, v33, v42
	v_add_f16_e32 v33, v0, v45
	;; [unrolled: 1-line block ×4, first 2 shown]
	v_pack_b32_f16 v7, v29, v27
	v_pack_b32_f16 v18, v28, v18
	v_add_f16_e32 v21, v34, v17
	v_pack_b32_f16 v5, v6, v5
	v_pack_b32_f16 v6, v30, v31
	;; [unrolled: 1-line block ×3, first 2 shown]
	ds_store_2addr_b32 v48, v7, v18 offset1:17
	v_pack_b32_f16 v7, v32, v35
	v_pack_b32_f16 v17, v0, v21
	;; [unrolled: 1-line block ×6, first 2 shown]
	ds_store_2addr_b32 v48, v5, v6 offset0:34 offset1:51
	ds_store_2addr_b32 v48, v7, v4 offset0:68 offset1:85
	;; [unrolled: 1-line block ×4, first 2 shown]
	ds_store_b32 v48, v28 offset:680
	v_add_nc_u32_e32 v6, 0x500, v41
	v_add_nc_u32_e32 v7, 0xb00, v41
	s_waitcnt lgkmcnt(0)
	s_barrier
	buffer_gl0_inv
	ds_load_2addr_b32 v[4:5], v41 offset1:187
	ds_load_2addr_b32 v[17:18], v6 offset0:54 offset1:241
	ds_load_2addr_b32 v[6:7], v7 offset0:44 offset1:231
	s_and_saveexec_b32 s1, s0
	s_cbranch_execz .LBB0_19
; %bb.18:
	v_add_nc_u32_e32 v0, 0x100, v41
	v_add_nc_u32_e32 v2, 0x700, v41
	;; [unrolled: 1-line block ×3, first 2 shown]
	ds_load_2addr_b32 v[0:1], v0 offset0:38 offset1:225
	ds_load_2addr_b32 v[2:3], v2 offset0:28 offset1:215
	;; [unrolled: 1-line block ×3, first 2 shown]
	s_waitcnt lgkmcnt(2)
	v_lshrrev_b32_e32 v21, 16, v0
	v_lshrrev_b32_e32 v25, 16, v1
	s_waitcnt lgkmcnt(1)
	v_lshrrev_b32_e32 v24, 16, v2
	v_lshrrev_b32_e32 v20, 16, v3
	;; [unrolled: 3-line block ×3, first 2 shown]
.LBB0_19:
	s_or_b32 exec_lo, exec_lo, s1
	s_waitcnt lgkmcnt(2)
	v_lshrrev_b32_e32 v26, 16, v5
	s_waitcnt lgkmcnt(1)
	v_lshrrev_b32_e32 v28, 16, v17
	v_lshrrev_b32_e32 v29, 16, v18
	s_waitcnt lgkmcnt(0)
	v_lshrrev_b32_e32 v30, 16, v6
	v_mul_f16_e32 v32, v66, v5
	v_mul_f16_e32 v31, v66, v26
	;; [unrolled: 1-line block ×4, first 2 shown]
	v_lshrrev_b32_e32 v33, 16, v7
	v_lshrrev_b32_e32 v27, 16, v4
	v_fmac_f16_e32 v31, v12, v5
	v_fma_f16 v5, v12, v26, -v32
	v_mul_f16_e32 v12, v61, v29
	v_fmac_f16_e32 v34, v13, v17
	v_mul_f16_e32 v17, v60, v30
	v_mul_f16_e32 v26, v61, v18
	v_fma_f16 v13, v13, v28, -v35
	v_fmac_f16_e32 v12, v14, v18
	v_mul_f16_e32 v18, v60, v6
	v_fmac_f16_e32 v17, v15, v6
	v_mul_f16_e32 v6, v58, v33
	v_fma_f16 v14, v14, v29, -v26
	v_mul_f16_e32 v26, v58, v7
	v_fma_f16 v15, v15, v30, -v18
	v_add_f16_e32 v18, v34, v17
	v_fmac_f16_e32 v6, v50, v7
	v_add_f16_e32 v7, v4, v34
	v_fma_f16 v26, v50, v33, -v26
	v_add_f16_e32 v28, v13, v15
	v_fmac_f16_e32 v4, -0.5, v18
	v_sub_f16_e32 v18, v13, v15
	v_add_f16_e32 v13, v27, v13
	v_add_f16_e32 v7, v7, v17
	v_fmac_f16_e32 v27, -0.5, v28
	v_sub_f16_e32 v17, v34, v17
	v_fmamk_f16 v28, v18, 0xbaee, v4
	v_fmac_f16_e32 v4, 0x3aee, v18
	v_add_f16_e32 v18, v14, v26
	v_add_f16_e32 v29, v12, v6
	;; [unrolled: 1-line block ×4, first 2 shown]
	v_fmamk_f16 v15, v17, 0x3aee, v27
	v_fmac_f16_e32 v5, -0.5, v18
	v_sub_f16_e32 v18, v12, v6
	v_add_f16_e32 v12, v31, v12
	v_fmac_f16_e32 v31, -0.5, v29
	v_sub_f16_e32 v14, v14, v26
	v_fmac_f16_e32 v27, 0xbaee, v17
	v_fmamk_f16 v17, v18, 0x3aee, v5
	v_fmac_f16_e32 v5, 0xbaee, v18
	v_add_f16_e32 v6, v12, v6
	v_fmamk_f16 v12, v14, 0xbaee, v31
	v_fmac_f16_e32 v31, 0x3aee, v14
	v_mul_f16_e32 v14, 0xbaee, v17
	v_mul_f16_e32 v17, 0.5, v17
	v_mul_f16_e32 v18, 0xbaee, v5
	v_mul_f16_e32 v5, -0.5, v5
	v_add_f16_e32 v26, v30, v26
	v_fmac_f16_e32 v14, 0.5, v12
	v_fmac_f16_e32 v17, 0x3aee, v12
	v_fmac_f16_e32 v18, -0.5, v31
	v_fmac_f16_e32 v5, 0x3aee, v31
	v_add_f16_e32 v29, v7, v6
	v_add_f16_e32 v12, v28, v14
	;; [unrolled: 1-line block ×6, first 2 shown]
	v_sub_f16_e32 v6, v7, v6
	v_sub_f16_e32 v13, v13, v26
	;; [unrolled: 1-line block ×6, first 2 shown]
	v_pack_b32_f16 v15, v29, v31
	v_pack_b32_f16 v12, v12, v32
	;; [unrolled: 1-line block ×4, first 2 shown]
	v_add_nc_u32_e32 v13, 0x500, v38
	v_pack_b32_f16 v7, v7, v14
	v_pack_b32_f16 v4, v4, v5
	v_add_nc_u32_e32 v5, 0xb00, v38
	ds_store_2addr_b32 v38, v15, v12 offset1:187
	ds_store_2addr_b32 v13, v17, v6 offset0:54 offset1:241
	ds_store_2addr_b32 v5, v7, v4 offset0:44 offset1:231
	s_and_saveexec_b32 s1, s0
	s_cbranch_execz .LBB0_21
; %bb.20:
	v_mul_f16_e32 v7, v55, v3
	v_mul_f16_e32 v12, v54, v23
	;; [unrolled: 1-line block ×7, first 2 shown]
	v_fma_f16 v7, v10, v20, -v7
	v_fma_f16 v12, v49, v71, -v12
	;; [unrolled: 1-line block ×4, first 2 shown]
	v_mul_f16_e32 v17, v53, v25
	v_fmac_f16_e32 v6, v10, v3
	v_fmac_f16_e32 v13, v49, v23
	v_fma_f16 v3, v8, v25, -v14
	v_add_f16_e32 v10, v7, v12
	v_mul_f16_e32 v14, v51, v24
	v_mul_f16_e32 v18, v52, v19
	v_add_f16_e32 v15, v5, v4
	v_fmac_f16_e32 v17, v8, v1
	v_add_f16_e32 v1, v6, v13
	v_fma_f16 v8, -0.5, v10, v3
	v_sub_f16_e32 v10, v6, v13
	v_fmac_f16_e32 v14, v9, v2
	v_fmac_f16_e32 v18, v11, v22
	v_fma_f16 v1, -0.5, v1, v17
	v_sub_f16_e32 v2, v7, v12
	v_fmamk_f16 v9, v10, 0xbaee, v8
	v_fma_f16 v11, -0.5, v15, v21
	v_sub_f16_e32 v15, v14, v18
	v_fmac_f16_e32 v8, 0x3aee, v10
	v_add_f16_e32 v23, v18, v14
	v_fmamk_f16 v19, v2, 0x3aee, v1
	v_fmac_f16_e32 v1, 0xbaee, v2
	v_fmamk_f16 v10, v15, 0xbaee, v11
	v_mul_f16_e32 v2, 0.5, v8
	v_fmac_f16_e32 v11, 0x3aee, v15
	v_add_f16_e32 v15, v4, v21
	v_add_f16_e32 v3, v7, v3
	v_fma_f16 v7, -0.5, v23, v0
	v_sub_f16_e32 v4, v4, v5
	v_mul_f16_e32 v8, 0xbaee, v8
	v_add_f16_e32 v0, v14, v0
	v_add_f16_e32 v6, v6, v17
	v_mul_f16_e32 v20, -0.5, v9
	v_mul_f16_e32 v9, 0xbaee, v9
	v_fmac_f16_e32 v2, 0x3aee, v1
	v_add_f16_e32 v5, v5, v15
	v_add_f16_e32 v3, v12, v3
	v_fmamk_f16 v12, v4, 0x3aee, v7
	v_fmac_f16_e32 v7, 0xbaee, v4
	v_fmac_f16_e32 v8, 0.5, v1
	v_add_f16_e32 v0, v18, v0
	v_add_f16_e32 v4, v13, v6
	v_fmac_f16_e32 v20, 0x3aee, v19
	v_fmac_f16_e32 v9, -0.5, v19
	v_sub_f16_e32 v21, v11, v2
	v_sub_f16_e32 v1, v5, v3
	;; [unrolled: 1-line block ×3, first 2 shown]
	v_add_f16_e32 v2, v11, v2
	v_add_f16_e32 v3, v5, v3
	;; [unrolled: 1-line block ×4, first 2 shown]
	v_sub_f16_e32 v6, v12, v9
	v_add_f16_e32 v8, v10, v20
	v_add_f16_e32 v9, v12, v9
	v_sub_f16_e32 v0, v0, v4
	v_sub_f16_e32 v22, v10, v20
	v_pack_b32_f16 v3, v5, v3
	v_pack_b32_f16 v2, v7, v2
	v_add_nc_u32_e32 v4, 0x100, v38
	v_pack_b32_f16 v5, v9, v8
	v_pack_b32_f16 v0, v0, v1
	v_add_nc_u32_e32 v1, 0x700, v38
	;; [unrolled: 3-line block ×3, first 2 shown]
	ds_store_2addr_b32 v4, v3, v2 offset0:38 offset1:225
	ds_store_2addr_b32 v1, v5, v0 offset0:28 offset1:215
	ds_store_2addr_b32 v8, v7, v6 offset0:18 offset1:205
.LBB0_21:
	s_or_b32 exec_lo, exec_lo, s1
	s_waitcnt lgkmcnt(0)
	s_barrier
	buffer_gl0_inv
	s_and_b32 exec_lo, exec_lo, vcc_lo
	s_cbranch_execz .LBB0_23
; %bb.22:
	global_load_b32 v0, v36, s[12:13]
	ds_load_b32 v1, v38
	s_mov_b32 s8, 0x4bc01d34
	s_mov_b32 s9, 0x3f4d347a
	v_mad_u64_u32 v[6:7], null, s4, v37, 0
	s_mul_hi_u32 s3, s4, 0x108
	s_mulk_i32 s4, 0x108
	s_waitcnt lgkmcnt(0)
	v_lshrrev_b32_e32 v2, 16, v1
	s_waitcnt vmcnt(0)
	v_lshrrev_b32_e32 v3, 16, v0
	s_delay_alu instid0(VALU_DEP_1) | instskip(SKIP_1) | instid1(VALU_DEP_2)
	v_mul_f16_e32 v4, v2, v3
	v_mul_f16_e32 v3, v1, v3
	v_fmac_f16_e32 v4, v1, v0
	s_delay_alu instid0(VALU_DEP_2) | instskip(NEXT) | instid1(VALU_DEP_2)
	v_fma_f16 v0, v0, v2, -v3
	v_cvt_f32_f16_e32 v1, v4
	s_delay_alu instid0(VALU_DEP_2) | instskip(SKIP_1) | instid1(VALU_DEP_3)
	v_cvt_f32_f16_e32 v2, v0
	v_mad_u64_u32 v[4:5], null, s6, v16, 0
	v_cvt_f64_f32_e32 v[0:1], v1
	s_delay_alu instid0(VALU_DEP_3) | instskip(NEXT) | instid1(VALU_DEP_2)
	v_cvt_f64_f32_e32 v[2:3], v2
	v_mul_f64 v[0:1], v[0:1], s[8:9]
	s_delay_alu instid0(VALU_DEP_2) | instskip(NEXT) | instid1(VALU_DEP_2)
	v_mul_f64 v[2:3], v[2:3], s[8:9]
	v_and_or_b32 v0, 0x1ff, v1, v0
	s_delay_alu instid0(VALU_DEP_2)
	v_and_or_b32 v2, 0x1ff, v3, v2
	v_lshrrev_b32_e32 v8, 8, v1
	v_bfe_u32 v10, v1, 20, 11
	v_lshrrev_b32_e32 v9, 8, v3
	v_cmp_ne_u32_e32 vcc_lo, 0, v0
	v_bfe_u32 v11, v3, 20, 11
	v_mov_b32_e32 v0, v7
	v_sub_nc_u32_e32 v13, 0x3f1, v10
	v_lshrrev_b32_e32 v3, 16, v3
	v_cndmask_b32_e64 v12, 0, 1, vcc_lo
	v_cmp_ne_u32_e32 vcc_lo, 0, v2
	v_sub_nc_u32_e32 v14, 0x3f1, v11
	v_med3_i32 v13, v13, 0, 13
	s_delay_alu instid0(VALU_DEP_4) | instskip(SKIP_3) | instid1(VALU_DEP_4)
	v_and_or_b32 v12, 0xffe, v8, v12
	v_cndmask_b32_e64 v2, 0, 1, vcc_lo
	v_mad_u64_u32 v[7:8], null, s7, v16, v[5:6]
	v_med3_i32 v14, v14, 0, 13
	v_or_b32_e32 v15, 0x1000, v12
	s_delay_alu instid0(VALU_DEP_4) | instskip(SKIP_1) | instid1(VALU_DEP_3)
	v_and_or_b32 v2, 0xffe, v9, v2
	v_mad_u64_u32 v[8:9], null, s5, v37, v[0:1]
	v_lshrrev_b32_e32 v0, v13, v15
	s_delay_alu instid0(VALU_DEP_3) | instskip(NEXT) | instid1(VALU_DEP_2)
	v_or_b32_e32 v16, 0x1000, v2
	v_lshlrev_b32_e32 v13, v13, v0
	s_delay_alu instid0(VALU_DEP_2) | instskip(SKIP_2) | instid1(VALU_DEP_4)
	v_lshrrev_b32_e32 v9, v14, v16
	v_mov_b32_e32 v5, v7
	v_mov_b32_e32 v7, v8
	v_cmp_ne_u32_e32 vcc_lo, v13, v15
	s_delay_alu instid0(VALU_DEP_4) | instskip(NEXT) | instid1(VALU_DEP_4)
	v_lshlrev_b32_e32 v8, v14, v9
	v_lshlrev_b64 v[4:5], 2, v[4:5]
	v_cndmask_b32_e64 v13, 0, 1, vcc_lo
	s_delay_alu instid0(VALU_DEP_3) | instskip(NEXT) | instid1(VALU_DEP_2)
	v_cmp_ne_u32_e32 vcc_lo, v8, v16
	v_or_b32_e32 v0, v0, v13
	v_add_nc_u32_e32 v11, 0xfffffc10, v11
	v_cndmask_b32_e64 v8, 0, 1, vcc_lo
	s_delay_alu instid0(VALU_DEP_2) | instskip(NEXT) | instid1(VALU_DEP_2)
	v_lshl_or_b32 v13, v11, 12, v2
	v_or_b32_e32 v8, v9, v8
	v_add_nc_u32_e32 v10, 0xfffffc10, v10
	v_lshrrev_b32_e32 v9, 16, v1
	s_delay_alu instid0(VALU_DEP_2) | instskip(SKIP_1) | instid1(VALU_DEP_2)
	v_lshl_or_b32 v14, v10, 12, v12
	v_cmp_gt_i32_e32 vcc_lo, 1, v10
	v_cndmask_b32_e32 v0, v14, v0, vcc_lo
	v_cmp_gt_i32_e32 vcc_lo, 1, v11
	v_cndmask_b32_e32 v1, v13, v8, vcc_lo
	v_cmp_ne_u32_e32 vcc_lo, 0, v12
	s_delay_alu instid0(VALU_DEP_4) | instskip(SKIP_3) | instid1(VALU_DEP_4)
	v_and_b32_e32 v12, 7, v0
	v_lshrrev_b32_e32 v0, 2, v0
	v_cndmask_b32_e64 v8, 0, 1, vcc_lo
	v_cmp_ne_u32_e32 vcc_lo, 0, v2
	v_cmp_eq_u32_e64 s0, 3, v12
	s_delay_alu instid0(VALU_DEP_3) | instskip(SKIP_2) | instid1(VALU_DEP_2)
	v_lshl_or_b32 v8, v8, 9, 0x7c00
	v_cndmask_b32_e64 v2, 0, 1, vcc_lo
	v_cmp_lt_i32_e32 vcc_lo, 5, v12
	v_lshl_or_b32 v2, v2, 9, 0x7c00
	s_or_b32 vcc_lo, s0, vcc_lo
	v_add_co_ci_u32_e32 v0, vcc_lo, 0, v0, vcc_lo
	v_and_b32_e32 v13, 7, v1
	v_lshrrev_b32_e32 v1, 2, v1
	s_delay_alu instid0(VALU_DEP_2) | instskip(SKIP_1) | instid1(VALU_DEP_1)
	v_cmp_lt_i32_e64 s1, 5, v13
	v_cmp_eq_u32_e64 s2, 3, v13
	s_or_b32 vcc_lo, s2, s1
	s_delay_alu instid0(VALU_DEP_3) | instskip(SKIP_3) | instid1(VALU_DEP_4)
	v_add_co_ci_u32_e32 v1, vcc_lo, 0, v1, vcc_lo
	v_cmp_gt_i32_e32 vcc_lo, 31, v10
	v_cndmask_b32_e32 v0, 0x7c00, v0, vcc_lo
	v_cmp_gt_i32_e32 vcc_lo, 31, v11
	v_cndmask_b32_e32 v12, 0x7c00, v1, vcc_lo
	v_cmp_eq_u32_e32 vcc_lo, 0x40f, v10
	s_delay_alu instid0(VALU_DEP_4) | instskip(SKIP_2) | instid1(VALU_DEP_3)
	v_cndmask_b32_e32 v8, v0, v8, vcc_lo
	v_cmp_eq_u32_e32 vcc_lo, 0x40f, v11
	v_lshlrev_b64 v[0:1], 2, v[6:7]
	v_and_or_b32 v6, 0x8000, v9, v8
	v_cndmask_b32_e32 v2, v12, v2, vcc_lo
	v_add_co_u32 v4, vcc_lo, s14, v4
	v_add_co_ci_u32_e32 v5, vcc_lo, s15, v5, vcc_lo
	s_delay_alu instid0(VALU_DEP_3) | instskip(SKIP_1) | instid1(VALU_DEP_4)
	v_and_or_b32 v2, 0x8000, v3, v2
	v_and_b32_e32 v3, 0xffff, v6
	v_add_co_u32 v0, vcc_lo, v4, v0
	s_delay_alu instid0(VALU_DEP_4) | instskip(NEXT) | instid1(VALU_DEP_3)
	v_add_co_ci_u32_e32 v1, vcc_lo, v5, v1, vcc_lo
	v_lshl_or_b32 v2, v2, 16, v3
	global_store_b32 v[0:1], v2, off
	global_load_b32 v4, v36, s[12:13] offset:264
	ds_load_2addr_b32 v[2:3], v38 offset0:66 offset1:132
	s_waitcnt lgkmcnt(0)
	v_lshrrev_b32_e32 v5, 16, v2
	s_waitcnt vmcnt(0)
	v_lshrrev_b32_e32 v6, 16, v4
	s_delay_alu instid0(VALU_DEP_1) | instskip(SKIP_1) | instid1(VALU_DEP_2)
	v_mul_f16_e32 v7, v5, v6
	v_mul_f16_e32 v6, v2, v6
	v_fmac_f16_e32 v7, v2, v4
	s_delay_alu instid0(VALU_DEP_2) | instskip(NEXT) | instid1(VALU_DEP_2)
	v_fma_f16 v2, v4, v5, -v6
	v_cvt_f32_f16_e32 v4, v7
	s_delay_alu instid0(VALU_DEP_2) | instskip(NEXT) | instid1(VALU_DEP_2)
	v_cvt_f32_f16_e32 v2, v2
	v_cvt_f64_f32_e32 v[4:5], v4
	s_delay_alu instid0(VALU_DEP_2) | instskip(NEXT) | instid1(VALU_DEP_2)
	v_cvt_f64_f32_e32 v[6:7], v2
	v_mul_f64 v[4:5], v[4:5], s[8:9]
	s_delay_alu instid0(VALU_DEP_2) | instskip(NEXT) | instid1(VALU_DEP_2)
	v_mul_f64 v[6:7], v[6:7], s[8:9]
	v_and_or_b32 v2, 0x1ff, v5, v4
	s_delay_alu instid0(VALU_DEP_2)
	v_and_or_b32 v6, 0x1ff, v7, v6
	v_lshrrev_b32_e32 v4, 8, v5
	v_bfe_u32 v8, v5, 20, 11
	v_lshrrev_b32_e32 v9, 8, v7
	v_cmp_ne_u32_e32 vcc_lo, 0, v2
	v_bfe_u32 v10, v7, 20, 11
	v_lshrrev_b32_e32 v5, 16, v5
	v_sub_nc_u32_e32 v11, 0x3f1, v8
	v_add_nc_u32_e32 v8, 0xfffffc10, v8
	v_cndmask_b32_e64 v2, 0, 1, vcc_lo
	v_cmp_ne_u32_e32 vcc_lo, 0, v6
	v_lshrrev_b32_e32 v7, 16, v7
	s_delay_alu instid0(VALU_DEP_3) | instskip(SKIP_3) | instid1(VALU_DEP_3)
	v_and_or_b32 v2, 0xffe, v4, v2
	v_cndmask_b32_e64 v6, 0, 1, vcc_lo
	v_sub_nc_u32_e32 v4, 0x3f1, v10
	v_add_nc_u32_e32 v10, 0xfffffc10, v10
	v_and_or_b32 v6, 0xffe, v9, v6
	v_med3_i32 v9, v11, 0, 13
	v_or_b32_e32 v11, 0x1000, v2
	v_med3_i32 v4, v4, 0, 13
	s_delay_alu instid0(VALU_DEP_4) | instskip(NEXT) | instid1(VALU_DEP_3)
	v_or_b32_e32 v12, 0x1000, v6
	v_lshrrev_b32_e32 v13, v9, v11
	s_delay_alu instid0(VALU_DEP_2) | instskip(NEXT) | instid1(VALU_DEP_2)
	v_lshrrev_b32_e32 v14, v4, v12
	v_lshlrev_b32_e32 v9, v9, v13
	s_delay_alu instid0(VALU_DEP_2) | instskip(NEXT) | instid1(VALU_DEP_2)
	v_lshlrev_b32_e32 v4, v4, v14
	v_cmp_ne_u32_e32 vcc_lo, v9, v11
	v_lshl_or_b32 v11, v8, 12, v2
	v_cndmask_b32_e64 v9, 0, 1, vcc_lo
	s_delay_alu instid0(VALU_DEP_4) | instskip(SKIP_1) | instid1(VALU_DEP_3)
	v_cmp_ne_u32_e32 vcc_lo, v4, v12
	v_lshl_or_b32 v12, v10, 12, v6
	v_or_b32_e32 v9, v13, v9
	v_cndmask_b32_e64 v4, 0, 1, vcc_lo
	v_cmp_gt_i32_e32 vcc_lo, 1, v8
	s_delay_alu instid0(VALU_DEP_2) | instskip(NEXT) | instid1(VALU_DEP_4)
	v_or_b32_e32 v4, v14, v4
	v_cndmask_b32_e32 v9, v11, v9, vcc_lo
	v_cmp_gt_i32_e32 vcc_lo, 1, v10
	s_delay_alu instid0(VALU_DEP_2) | instskip(SKIP_2) | instid1(VALU_DEP_3)
	v_dual_cndmask_b32 v4, v12, v4 :: v_dual_and_b32 v11, 7, v9
	v_cmp_ne_u32_e32 vcc_lo, 0, v2
	v_lshrrev_b32_e32 v9, 2, v9
	v_cmp_eq_u32_e64 s0, 3, v11
	s_delay_alu instid0(VALU_DEP_4) | instskip(SKIP_3) | instid1(VALU_DEP_4)
	v_and_b32_e32 v12, 7, v4
	v_cndmask_b32_e64 v2, 0, 1, vcc_lo
	v_cmp_ne_u32_e32 vcc_lo, 0, v6
	v_lshrrev_b32_e32 v4, 2, v4
	v_cmp_lt_i32_e64 s1, 5, v12
	v_cmp_eq_u32_e64 s2, 3, v12
	v_cndmask_b32_e64 v6, 0, 1, vcc_lo
	v_cmp_lt_i32_e32 vcc_lo, 5, v11
	v_lshl_or_b32 v2, v2, 9, 0x7c00
	s_delay_alu instid0(VALU_DEP_3)
	v_lshl_or_b32 v6, v6, 9, 0x7c00
	s_or_b32 vcc_lo, s0, vcc_lo
	s_mul_i32 s0, s5, 0x108
	v_add_co_ci_u32_e32 v9, vcc_lo, 0, v9, vcc_lo
	s_or_b32 vcc_lo, s2, s1
	s_add_i32 s3, s3, s0
	v_add_co_ci_u32_e32 v4, vcc_lo, 0, v4, vcc_lo
	v_cmp_gt_i32_e32 vcc_lo, 31, v8
	v_cndmask_b32_e32 v9, 0x7c00, v9, vcc_lo
	v_cmp_gt_i32_e32 vcc_lo, 31, v10
	s_delay_alu instid0(VALU_DEP_4) | instskip(SKIP_1) | instid1(VALU_DEP_4)
	v_cndmask_b32_e32 v4, 0x7c00, v4, vcc_lo
	v_cmp_eq_u32_e32 vcc_lo, 0x40f, v8
	v_cndmask_b32_e32 v2, v9, v2, vcc_lo
	v_cmp_eq_u32_e32 vcc_lo, 0x40f, v10
	s_delay_alu instid0(VALU_DEP_2) | instskip(SKIP_3) | instid1(VALU_DEP_3)
	v_and_or_b32 v2, 0x8000, v5, v2
	v_cndmask_b32_e32 v4, v4, v6, vcc_lo
	v_add_co_u32 v0, vcc_lo, v0, s4
	v_add_co_ci_u32_e32 v1, vcc_lo, s3, v1, vcc_lo
	v_and_or_b32 v4, 0x8000, v7, v4
	v_and_b32_e32 v2, 0xffff, v2
	s_delay_alu instid0(VALU_DEP_1)
	v_lshl_or_b32 v2, v4, 16, v2
	v_lshrrev_b32_e32 v4, 16, v3
	global_store_b32 v[0:1], v2, off
	global_load_b32 v2, v36, s[12:13] offset:528
	s_waitcnt vmcnt(0)
	v_lshrrev_b32_e32 v5, 16, v2
	s_delay_alu instid0(VALU_DEP_1) | instskip(SKIP_1) | instid1(VALU_DEP_2)
	v_mul_f16_e32 v6, v4, v5
	v_mul_f16_e32 v5, v3, v5
	v_fmac_f16_e32 v6, v3, v2
	s_delay_alu instid0(VALU_DEP_2) | instskip(NEXT) | instid1(VALU_DEP_2)
	v_fma_f16 v2, v2, v4, -v5
	v_cvt_f32_f16_e32 v3, v6
	s_delay_alu instid0(VALU_DEP_2) | instskip(NEXT) | instid1(VALU_DEP_2)
	v_cvt_f32_f16_e32 v4, v2
	v_cvt_f64_f32_e32 v[2:3], v3
	s_delay_alu instid0(VALU_DEP_2) | instskip(NEXT) | instid1(VALU_DEP_2)
	v_cvt_f64_f32_e32 v[4:5], v4
	v_mul_f64 v[2:3], v[2:3], s[8:9]
	s_delay_alu instid0(VALU_DEP_2) | instskip(NEXT) | instid1(VALU_DEP_2)
	v_mul_f64 v[4:5], v[4:5], s[8:9]
	v_and_or_b32 v2, 0x1ff, v3, v2
	s_delay_alu instid0(VALU_DEP_2)
	v_and_or_b32 v4, 0x1ff, v5, v4
	v_lshrrev_b32_e32 v6, 8, v3
	v_bfe_u32 v7, v3, 20, 11
	v_lshrrev_b32_e32 v8, 8, v5
	v_cmp_ne_u32_e32 vcc_lo, 0, v2
	v_bfe_u32 v9, v5, 20, 11
	v_lshrrev_b32_e32 v3, 16, v3
	v_sub_nc_u32_e32 v10, 0x3f1, v7
	v_add_nc_u32_e32 v7, 0xfffffc10, v7
	v_cndmask_b32_e64 v2, 0, 1, vcc_lo
	v_cmp_ne_u32_e32 vcc_lo, 0, v4
	v_lshrrev_b32_e32 v5, 16, v5
	s_delay_alu instid0(VALU_DEP_3) | instskip(SKIP_3) | instid1(VALU_DEP_3)
	v_and_or_b32 v2, 0xffe, v6, v2
	v_cndmask_b32_e64 v4, 0, 1, vcc_lo
	v_sub_nc_u32_e32 v6, 0x3f1, v9
	v_add_nc_u32_e32 v9, 0xfffffc10, v9
	v_and_or_b32 v4, 0xffe, v8, v4
	v_med3_i32 v8, v10, 0, 13
	v_or_b32_e32 v10, 0x1000, v2
	v_med3_i32 v6, v6, 0, 13
	s_delay_alu instid0(VALU_DEP_4) | instskip(NEXT) | instid1(VALU_DEP_3)
	v_or_b32_e32 v11, 0x1000, v4
	v_lshrrev_b32_e32 v12, v8, v10
	s_delay_alu instid0(VALU_DEP_2) | instskip(NEXT) | instid1(VALU_DEP_2)
	v_lshrrev_b32_e32 v13, v6, v11
	v_lshlrev_b32_e32 v8, v8, v12
	s_delay_alu instid0(VALU_DEP_2) | instskip(NEXT) | instid1(VALU_DEP_2)
	v_lshlrev_b32_e32 v6, v6, v13
	v_cmp_ne_u32_e32 vcc_lo, v8, v10
	v_lshl_or_b32 v10, v7, 12, v2
	v_cndmask_b32_e64 v8, 0, 1, vcc_lo
	s_delay_alu instid0(VALU_DEP_4) | instskip(SKIP_1) | instid1(VALU_DEP_3)
	v_cmp_ne_u32_e32 vcc_lo, v6, v11
	v_lshl_or_b32 v11, v9, 12, v4
	v_or_b32_e32 v8, v12, v8
	v_cndmask_b32_e64 v6, 0, 1, vcc_lo
	v_cmp_gt_i32_e32 vcc_lo, 1, v7
	s_delay_alu instid0(VALU_DEP_2) | instskip(NEXT) | instid1(VALU_DEP_4)
	v_or_b32_e32 v6, v13, v6
	v_cndmask_b32_e32 v8, v10, v8, vcc_lo
	v_cmp_gt_i32_e32 vcc_lo, 1, v9
	s_delay_alu instid0(VALU_DEP_2) | instskip(NEXT) | instid1(VALU_DEP_4)
	v_and_b32_e32 v10, 7, v8
	v_cndmask_b32_e32 v6, v11, v6, vcc_lo
	v_cmp_ne_u32_e32 vcc_lo, 0, v2
	v_lshrrev_b32_e32 v8, 2, v8
	s_delay_alu instid0(VALU_DEP_4) | instskip(NEXT) | instid1(VALU_DEP_4)
	v_cmp_eq_u32_e64 s0, 3, v10
	v_and_b32_e32 v11, 7, v6
	v_cndmask_b32_e64 v2, 0, 1, vcc_lo
	v_cmp_ne_u32_e32 vcc_lo, 0, v4
	v_lshrrev_b32_e32 v6, 2, v6
	s_delay_alu instid0(VALU_DEP_4) | instskip(SKIP_4) | instid1(VALU_DEP_3)
	v_cmp_lt_i32_e64 s1, 5, v11
	v_cmp_eq_u32_e64 s2, 3, v11
	v_cndmask_b32_e64 v4, 0, 1, vcc_lo
	v_cmp_lt_i32_e32 vcc_lo, 5, v10
	v_lshl_or_b32 v2, v2, 9, 0x7c00
	v_lshl_or_b32 v4, v4, 9, 0x7c00
	s_or_b32 vcc_lo, s0, vcc_lo
	v_add_co_ci_u32_e32 v8, vcc_lo, 0, v8, vcc_lo
	s_or_b32 vcc_lo, s2, s1
	v_add_co_ci_u32_e32 v6, vcc_lo, 0, v6, vcc_lo
	v_cmp_gt_i32_e32 vcc_lo, 31, v7
	s_delay_alu instid0(VALU_DEP_3) | instskip(SKIP_1) | instid1(VALU_DEP_4)
	v_cndmask_b32_e32 v8, 0x7c00, v8, vcc_lo
	v_cmp_gt_i32_e32 vcc_lo, 31, v9
	v_cndmask_b32_e32 v6, 0x7c00, v6, vcc_lo
	v_cmp_eq_u32_e32 vcc_lo, 0x40f, v7
	s_delay_alu instid0(VALU_DEP_4) | instskip(SKIP_1) | instid1(VALU_DEP_2)
	v_cndmask_b32_e32 v2, v8, v2, vcc_lo
	v_cmp_eq_u32_e32 vcc_lo, 0x40f, v9
	v_and_or_b32 v2, 0x8000, v3, v2
	v_cndmask_b32_e32 v4, v6, v4, vcc_lo
	v_add_co_u32 v0, vcc_lo, v0, s4
	v_add_co_ci_u32_e32 v1, vcc_lo, s3, v1, vcc_lo
	s_delay_alu instid0(VALU_DEP_3) | instskip(SKIP_1) | instid1(VALU_DEP_1)
	v_and_or_b32 v3, 0x8000, v5, v4
	v_and_b32_e32 v2, 0xffff, v2
	v_lshl_or_b32 v2, v3, 16, v2
	global_store_b32 v[0:1], v2, off
	global_load_b32 v4, v36, s[12:13] offset:792
	v_add_nc_u32_e32 v2, 0x200, v38
	ds_load_2addr_b32 v[2:3], v2 offset0:70 offset1:136
	s_waitcnt lgkmcnt(0)
	v_lshrrev_b32_e32 v5, 16, v2
	s_waitcnt vmcnt(0)
	v_lshrrev_b32_e32 v6, 16, v4
	s_delay_alu instid0(VALU_DEP_1) | instskip(SKIP_1) | instid1(VALU_DEP_2)
	v_mul_f16_e32 v7, v5, v6
	v_mul_f16_e32 v6, v2, v6
	v_fmac_f16_e32 v7, v2, v4
	s_delay_alu instid0(VALU_DEP_2) | instskip(NEXT) | instid1(VALU_DEP_2)
	v_fma_f16 v2, v4, v5, -v6
	v_cvt_f32_f16_e32 v4, v7
	s_delay_alu instid0(VALU_DEP_2) | instskip(NEXT) | instid1(VALU_DEP_2)
	v_cvt_f32_f16_e32 v2, v2
	v_cvt_f64_f32_e32 v[4:5], v4
	s_delay_alu instid0(VALU_DEP_2) | instskip(NEXT) | instid1(VALU_DEP_2)
	v_cvt_f64_f32_e32 v[6:7], v2
	v_mul_f64 v[4:5], v[4:5], s[8:9]
	s_delay_alu instid0(VALU_DEP_2) | instskip(NEXT) | instid1(VALU_DEP_2)
	v_mul_f64 v[6:7], v[6:7], s[8:9]
	v_and_or_b32 v2, 0x1ff, v5, v4
	s_delay_alu instid0(VALU_DEP_2)
	v_and_or_b32 v6, 0x1ff, v7, v6
	v_lshrrev_b32_e32 v4, 8, v5
	v_bfe_u32 v8, v5, 20, 11
	v_lshrrev_b32_e32 v9, 8, v7
	v_cmp_ne_u32_e32 vcc_lo, 0, v2
	v_bfe_u32 v10, v7, 20, 11
	v_lshrrev_b32_e32 v5, 16, v5
	v_sub_nc_u32_e32 v11, 0x3f1, v8
	v_add_nc_u32_e32 v8, 0xfffffc10, v8
	v_cndmask_b32_e64 v2, 0, 1, vcc_lo
	v_cmp_ne_u32_e32 vcc_lo, 0, v6
	v_lshrrev_b32_e32 v7, 16, v7
	s_delay_alu instid0(VALU_DEP_3) | instskip(SKIP_3) | instid1(VALU_DEP_3)
	v_and_or_b32 v2, 0xffe, v4, v2
	v_cndmask_b32_e64 v6, 0, 1, vcc_lo
	v_sub_nc_u32_e32 v4, 0x3f1, v10
	v_add_nc_u32_e32 v10, 0xfffffc10, v10
	v_and_or_b32 v6, 0xffe, v9, v6
	v_med3_i32 v9, v11, 0, 13
	v_or_b32_e32 v11, 0x1000, v2
	v_med3_i32 v4, v4, 0, 13
	s_delay_alu instid0(VALU_DEP_4) | instskip(NEXT) | instid1(VALU_DEP_3)
	v_or_b32_e32 v12, 0x1000, v6
	v_lshrrev_b32_e32 v13, v9, v11
	s_delay_alu instid0(VALU_DEP_2) | instskip(NEXT) | instid1(VALU_DEP_2)
	v_lshrrev_b32_e32 v14, v4, v12
	v_lshlrev_b32_e32 v9, v9, v13
	s_delay_alu instid0(VALU_DEP_2) | instskip(NEXT) | instid1(VALU_DEP_2)
	v_lshlrev_b32_e32 v4, v4, v14
	v_cmp_ne_u32_e32 vcc_lo, v9, v11
	v_lshl_or_b32 v11, v8, 12, v2
	v_cndmask_b32_e64 v9, 0, 1, vcc_lo
	s_delay_alu instid0(VALU_DEP_4) | instskip(SKIP_1) | instid1(VALU_DEP_3)
	v_cmp_ne_u32_e32 vcc_lo, v4, v12
	v_lshl_or_b32 v12, v10, 12, v6
	v_or_b32_e32 v9, v13, v9
	v_cndmask_b32_e64 v4, 0, 1, vcc_lo
	v_cmp_gt_i32_e32 vcc_lo, 1, v8
	s_delay_alu instid0(VALU_DEP_2) | instskip(NEXT) | instid1(VALU_DEP_4)
	v_or_b32_e32 v4, v14, v4
	v_cndmask_b32_e32 v9, v11, v9, vcc_lo
	v_cmp_gt_i32_e32 vcc_lo, 1, v10
	s_delay_alu instid0(VALU_DEP_2) | instskip(SKIP_2) | instid1(VALU_DEP_3)
	v_dual_cndmask_b32 v4, v12, v4 :: v_dual_and_b32 v11, 7, v9
	v_cmp_ne_u32_e32 vcc_lo, 0, v2
	v_lshrrev_b32_e32 v9, 2, v9
	v_cmp_eq_u32_e64 s0, 3, v11
	s_delay_alu instid0(VALU_DEP_4) | instskip(SKIP_3) | instid1(VALU_DEP_4)
	v_and_b32_e32 v12, 7, v4
	v_cndmask_b32_e64 v2, 0, 1, vcc_lo
	v_cmp_ne_u32_e32 vcc_lo, 0, v6
	v_lshrrev_b32_e32 v4, 2, v4
	v_cmp_lt_i32_e64 s1, 5, v12
	v_cmp_eq_u32_e64 s2, 3, v12
	v_cndmask_b32_e64 v6, 0, 1, vcc_lo
	v_cmp_lt_i32_e32 vcc_lo, 5, v11
	v_lshl_or_b32 v2, v2, 9, 0x7c00
	s_delay_alu instid0(VALU_DEP_3)
	v_lshl_or_b32 v6, v6, 9, 0x7c00
	s_or_b32 vcc_lo, s0, vcc_lo
	v_add_co_ci_u32_e32 v9, vcc_lo, 0, v9, vcc_lo
	s_or_b32 vcc_lo, s2, s1
	v_add_co_ci_u32_e32 v4, vcc_lo, 0, v4, vcc_lo
	v_cmp_gt_i32_e32 vcc_lo, 31, v8
	s_delay_alu instid0(VALU_DEP_3) | instskip(SKIP_1) | instid1(VALU_DEP_4)
	v_cndmask_b32_e32 v9, 0x7c00, v9, vcc_lo
	v_cmp_gt_i32_e32 vcc_lo, 31, v10
	v_cndmask_b32_e32 v4, 0x7c00, v4, vcc_lo
	v_cmp_eq_u32_e32 vcc_lo, 0x40f, v8
	s_delay_alu instid0(VALU_DEP_4) | instskip(SKIP_1) | instid1(VALU_DEP_2)
	v_cndmask_b32_e32 v2, v9, v2, vcc_lo
	v_cmp_eq_u32_e32 vcc_lo, 0x40f, v10
	v_and_or_b32 v2, 0x8000, v5, v2
	v_cndmask_b32_e32 v4, v4, v6, vcc_lo
	v_add_co_u32 v0, vcc_lo, v0, s4
	v_add_co_ci_u32_e32 v1, vcc_lo, s3, v1, vcc_lo
	s_delay_alu instid0(VALU_DEP_3) | instskip(SKIP_1) | instid1(VALU_DEP_1)
	v_and_or_b32 v4, 0x8000, v7, v4
	v_and_b32_e32 v2, 0xffff, v2
	v_lshl_or_b32 v2, v4, 16, v2
	v_lshrrev_b32_e32 v4, 16, v3
	global_store_b32 v[0:1], v2, off
	global_load_b32 v2, v36, s[12:13] offset:1056
	s_waitcnt vmcnt(0)
	v_lshrrev_b32_e32 v5, 16, v2
	s_delay_alu instid0(VALU_DEP_1) | instskip(SKIP_1) | instid1(VALU_DEP_2)
	v_mul_f16_e32 v6, v4, v5
	v_mul_f16_e32 v5, v3, v5
	v_fmac_f16_e32 v6, v3, v2
	s_delay_alu instid0(VALU_DEP_2) | instskip(NEXT) | instid1(VALU_DEP_2)
	v_fma_f16 v2, v2, v4, -v5
	v_cvt_f32_f16_e32 v3, v6
	s_delay_alu instid0(VALU_DEP_2) | instskip(NEXT) | instid1(VALU_DEP_2)
	v_cvt_f32_f16_e32 v4, v2
	v_cvt_f64_f32_e32 v[2:3], v3
	s_delay_alu instid0(VALU_DEP_2) | instskip(NEXT) | instid1(VALU_DEP_2)
	v_cvt_f64_f32_e32 v[4:5], v4
	v_mul_f64 v[2:3], v[2:3], s[8:9]
	s_delay_alu instid0(VALU_DEP_2) | instskip(NEXT) | instid1(VALU_DEP_2)
	v_mul_f64 v[4:5], v[4:5], s[8:9]
	v_and_or_b32 v2, 0x1ff, v3, v2
	s_delay_alu instid0(VALU_DEP_2)
	v_and_or_b32 v4, 0x1ff, v5, v4
	v_lshrrev_b32_e32 v6, 8, v3
	v_bfe_u32 v7, v3, 20, 11
	v_lshrrev_b32_e32 v8, 8, v5
	v_cmp_ne_u32_e32 vcc_lo, 0, v2
	v_bfe_u32 v9, v5, 20, 11
	v_lshrrev_b32_e32 v3, 16, v3
	v_sub_nc_u32_e32 v10, 0x3f1, v7
	v_add_nc_u32_e32 v7, 0xfffffc10, v7
	v_cndmask_b32_e64 v2, 0, 1, vcc_lo
	v_cmp_ne_u32_e32 vcc_lo, 0, v4
	v_lshrrev_b32_e32 v5, 16, v5
	s_delay_alu instid0(VALU_DEP_3) | instskip(SKIP_3) | instid1(VALU_DEP_3)
	v_and_or_b32 v2, 0xffe, v6, v2
	v_cndmask_b32_e64 v4, 0, 1, vcc_lo
	v_sub_nc_u32_e32 v6, 0x3f1, v9
	v_add_nc_u32_e32 v9, 0xfffffc10, v9
	v_and_or_b32 v4, 0xffe, v8, v4
	v_med3_i32 v8, v10, 0, 13
	v_or_b32_e32 v10, 0x1000, v2
	v_med3_i32 v6, v6, 0, 13
	s_delay_alu instid0(VALU_DEP_4) | instskip(NEXT) | instid1(VALU_DEP_3)
	v_or_b32_e32 v11, 0x1000, v4
	v_lshrrev_b32_e32 v12, v8, v10
	s_delay_alu instid0(VALU_DEP_2) | instskip(NEXT) | instid1(VALU_DEP_2)
	v_lshrrev_b32_e32 v13, v6, v11
	v_lshlrev_b32_e32 v8, v8, v12
	s_delay_alu instid0(VALU_DEP_2) | instskip(NEXT) | instid1(VALU_DEP_2)
	v_lshlrev_b32_e32 v6, v6, v13
	v_cmp_ne_u32_e32 vcc_lo, v8, v10
	v_lshl_or_b32 v10, v7, 12, v2
	v_cndmask_b32_e64 v8, 0, 1, vcc_lo
	s_delay_alu instid0(VALU_DEP_4) | instskip(SKIP_1) | instid1(VALU_DEP_3)
	v_cmp_ne_u32_e32 vcc_lo, v6, v11
	v_lshl_or_b32 v11, v9, 12, v4
	v_or_b32_e32 v8, v12, v8
	v_cndmask_b32_e64 v6, 0, 1, vcc_lo
	v_cmp_gt_i32_e32 vcc_lo, 1, v7
	s_delay_alu instid0(VALU_DEP_2) | instskip(NEXT) | instid1(VALU_DEP_4)
	v_or_b32_e32 v6, v13, v6
	v_cndmask_b32_e32 v8, v10, v8, vcc_lo
	v_cmp_gt_i32_e32 vcc_lo, 1, v9
	s_delay_alu instid0(VALU_DEP_2) | instskip(NEXT) | instid1(VALU_DEP_4)
	v_and_b32_e32 v10, 7, v8
	v_cndmask_b32_e32 v6, v11, v6, vcc_lo
	v_cmp_ne_u32_e32 vcc_lo, 0, v2
	v_lshrrev_b32_e32 v8, 2, v8
	s_delay_alu instid0(VALU_DEP_4) | instskip(NEXT) | instid1(VALU_DEP_4)
	v_cmp_eq_u32_e64 s0, 3, v10
	v_and_b32_e32 v11, 7, v6
	v_cndmask_b32_e64 v2, 0, 1, vcc_lo
	v_cmp_ne_u32_e32 vcc_lo, 0, v4
	v_lshrrev_b32_e32 v6, 2, v6
	s_delay_alu instid0(VALU_DEP_4) | instskip(SKIP_4) | instid1(VALU_DEP_3)
	v_cmp_lt_i32_e64 s1, 5, v11
	v_cmp_eq_u32_e64 s2, 3, v11
	v_cndmask_b32_e64 v4, 0, 1, vcc_lo
	v_cmp_lt_i32_e32 vcc_lo, 5, v10
	v_lshl_or_b32 v2, v2, 9, 0x7c00
	v_lshl_or_b32 v4, v4, 9, 0x7c00
	s_or_b32 vcc_lo, s0, vcc_lo
	v_add_co_ci_u32_e32 v8, vcc_lo, 0, v8, vcc_lo
	s_or_b32 vcc_lo, s2, s1
	v_add_co_ci_u32_e32 v6, vcc_lo, 0, v6, vcc_lo
	v_cmp_gt_i32_e32 vcc_lo, 31, v7
	s_delay_alu instid0(VALU_DEP_3) | instskip(SKIP_1) | instid1(VALU_DEP_4)
	v_cndmask_b32_e32 v8, 0x7c00, v8, vcc_lo
	v_cmp_gt_i32_e32 vcc_lo, 31, v9
	v_cndmask_b32_e32 v6, 0x7c00, v6, vcc_lo
	v_cmp_eq_u32_e32 vcc_lo, 0x40f, v7
	s_delay_alu instid0(VALU_DEP_4) | instskip(SKIP_1) | instid1(VALU_DEP_2)
	v_cndmask_b32_e32 v2, v8, v2, vcc_lo
	v_cmp_eq_u32_e32 vcc_lo, 0x40f, v9
	v_and_or_b32 v2, 0x8000, v3, v2
	v_cndmask_b32_e32 v4, v6, v4, vcc_lo
	v_add_co_u32 v0, vcc_lo, v0, s4
	v_add_co_ci_u32_e32 v1, vcc_lo, s3, v1, vcc_lo
	s_delay_alu instid0(VALU_DEP_3) | instskip(SKIP_1) | instid1(VALU_DEP_1)
	v_and_or_b32 v3, 0x8000, v5, v4
	v_and_b32_e32 v2, 0xffff, v2
	v_lshl_or_b32 v2, v3, 16, v2
	global_store_b32 v[0:1], v2, off
	global_load_b32 v4, v36, s[12:13] offset:1320
	v_add_nc_u32_e32 v2, 0x400, v38
	ds_load_2addr_b32 v[2:3], v2 offset0:74 offset1:140
	s_waitcnt lgkmcnt(0)
	v_lshrrev_b32_e32 v5, 16, v2
	s_waitcnt vmcnt(0)
	v_lshrrev_b32_e32 v6, 16, v4
	s_delay_alu instid0(VALU_DEP_1) | instskip(SKIP_1) | instid1(VALU_DEP_2)
	v_mul_f16_e32 v7, v5, v6
	v_mul_f16_e32 v6, v2, v6
	v_fmac_f16_e32 v7, v2, v4
	s_delay_alu instid0(VALU_DEP_2) | instskip(NEXT) | instid1(VALU_DEP_2)
	v_fma_f16 v2, v4, v5, -v6
	v_cvt_f32_f16_e32 v4, v7
	s_delay_alu instid0(VALU_DEP_2) | instskip(NEXT) | instid1(VALU_DEP_2)
	v_cvt_f32_f16_e32 v2, v2
	v_cvt_f64_f32_e32 v[4:5], v4
	s_delay_alu instid0(VALU_DEP_2) | instskip(NEXT) | instid1(VALU_DEP_2)
	v_cvt_f64_f32_e32 v[6:7], v2
	v_mul_f64 v[4:5], v[4:5], s[8:9]
	s_delay_alu instid0(VALU_DEP_2) | instskip(NEXT) | instid1(VALU_DEP_2)
	v_mul_f64 v[6:7], v[6:7], s[8:9]
	v_and_or_b32 v2, 0x1ff, v5, v4
	s_delay_alu instid0(VALU_DEP_2)
	v_and_or_b32 v6, 0x1ff, v7, v6
	v_lshrrev_b32_e32 v4, 8, v5
	v_bfe_u32 v8, v5, 20, 11
	v_lshrrev_b32_e32 v9, 8, v7
	v_cmp_ne_u32_e32 vcc_lo, 0, v2
	v_bfe_u32 v10, v7, 20, 11
	v_lshrrev_b32_e32 v5, 16, v5
	v_sub_nc_u32_e32 v11, 0x3f1, v8
	v_add_nc_u32_e32 v8, 0xfffffc10, v8
	v_cndmask_b32_e64 v2, 0, 1, vcc_lo
	v_cmp_ne_u32_e32 vcc_lo, 0, v6
	v_lshrrev_b32_e32 v7, 16, v7
	s_delay_alu instid0(VALU_DEP_3) | instskip(SKIP_3) | instid1(VALU_DEP_3)
	v_and_or_b32 v2, 0xffe, v4, v2
	v_cndmask_b32_e64 v6, 0, 1, vcc_lo
	v_sub_nc_u32_e32 v4, 0x3f1, v10
	v_add_nc_u32_e32 v10, 0xfffffc10, v10
	v_and_or_b32 v6, 0xffe, v9, v6
	v_med3_i32 v9, v11, 0, 13
	v_or_b32_e32 v11, 0x1000, v2
	v_med3_i32 v4, v4, 0, 13
	s_delay_alu instid0(VALU_DEP_4) | instskip(NEXT) | instid1(VALU_DEP_3)
	v_or_b32_e32 v12, 0x1000, v6
	v_lshrrev_b32_e32 v13, v9, v11
	s_delay_alu instid0(VALU_DEP_2) | instskip(NEXT) | instid1(VALU_DEP_2)
	v_lshrrev_b32_e32 v14, v4, v12
	v_lshlrev_b32_e32 v9, v9, v13
	s_delay_alu instid0(VALU_DEP_2) | instskip(NEXT) | instid1(VALU_DEP_2)
	v_lshlrev_b32_e32 v4, v4, v14
	v_cmp_ne_u32_e32 vcc_lo, v9, v11
	v_lshl_or_b32 v11, v8, 12, v2
	v_cndmask_b32_e64 v9, 0, 1, vcc_lo
	s_delay_alu instid0(VALU_DEP_4) | instskip(SKIP_1) | instid1(VALU_DEP_3)
	v_cmp_ne_u32_e32 vcc_lo, v4, v12
	v_lshl_or_b32 v12, v10, 12, v6
	v_or_b32_e32 v9, v13, v9
	v_cndmask_b32_e64 v4, 0, 1, vcc_lo
	v_cmp_gt_i32_e32 vcc_lo, 1, v8
	s_delay_alu instid0(VALU_DEP_2) | instskip(NEXT) | instid1(VALU_DEP_4)
	v_or_b32_e32 v4, v14, v4
	v_cndmask_b32_e32 v9, v11, v9, vcc_lo
	v_cmp_gt_i32_e32 vcc_lo, 1, v10
	s_delay_alu instid0(VALU_DEP_2) | instskip(SKIP_2) | instid1(VALU_DEP_3)
	v_dual_cndmask_b32 v4, v12, v4 :: v_dual_and_b32 v11, 7, v9
	v_cmp_ne_u32_e32 vcc_lo, 0, v2
	v_lshrrev_b32_e32 v9, 2, v9
	v_cmp_eq_u32_e64 s0, 3, v11
	s_delay_alu instid0(VALU_DEP_4) | instskip(SKIP_3) | instid1(VALU_DEP_4)
	v_and_b32_e32 v12, 7, v4
	v_cndmask_b32_e64 v2, 0, 1, vcc_lo
	v_cmp_ne_u32_e32 vcc_lo, 0, v6
	v_lshrrev_b32_e32 v4, 2, v4
	v_cmp_lt_i32_e64 s1, 5, v12
	v_cmp_eq_u32_e64 s2, 3, v12
	v_cndmask_b32_e64 v6, 0, 1, vcc_lo
	v_cmp_lt_i32_e32 vcc_lo, 5, v11
	v_lshl_or_b32 v2, v2, 9, 0x7c00
	s_delay_alu instid0(VALU_DEP_3)
	v_lshl_or_b32 v6, v6, 9, 0x7c00
	s_or_b32 vcc_lo, s0, vcc_lo
	v_add_co_ci_u32_e32 v9, vcc_lo, 0, v9, vcc_lo
	s_or_b32 vcc_lo, s2, s1
	v_add_co_ci_u32_e32 v4, vcc_lo, 0, v4, vcc_lo
	v_cmp_gt_i32_e32 vcc_lo, 31, v8
	s_delay_alu instid0(VALU_DEP_3) | instskip(SKIP_1) | instid1(VALU_DEP_4)
	v_cndmask_b32_e32 v9, 0x7c00, v9, vcc_lo
	v_cmp_gt_i32_e32 vcc_lo, 31, v10
	v_cndmask_b32_e32 v4, 0x7c00, v4, vcc_lo
	v_cmp_eq_u32_e32 vcc_lo, 0x40f, v8
	s_delay_alu instid0(VALU_DEP_4) | instskip(SKIP_1) | instid1(VALU_DEP_2)
	v_cndmask_b32_e32 v2, v9, v2, vcc_lo
	v_cmp_eq_u32_e32 vcc_lo, 0x40f, v10
	v_and_or_b32 v2, 0x8000, v5, v2
	v_cndmask_b32_e32 v4, v4, v6, vcc_lo
	v_add_co_u32 v0, vcc_lo, v0, s4
	v_add_co_ci_u32_e32 v1, vcc_lo, s3, v1, vcc_lo
	s_delay_alu instid0(VALU_DEP_3) | instskip(SKIP_1) | instid1(VALU_DEP_1)
	v_and_or_b32 v4, 0x8000, v7, v4
	v_and_b32_e32 v2, 0xffff, v2
	v_lshl_or_b32 v2, v4, 16, v2
	v_lshrrev_b32_e32 v4, 16, v3
	global_store_b32 v[0:1], v2, off
	global_load_b32 v2, v36, s[12:13] offset:1584
	s_waitcnt vmcnt(0)
	v_lshrrev_b32_e32 v5, 16, v2
	s_delay_alu instid0(VALU_DEP_1) | instskip(SKIP_1) | instid1(VALU_DEP_2)
	v_mul_f16_e32 v6, v4, v5
	v_mul_f16_e32 v5, v3, v5
	v_fmac_f16_e32 v6, v3, v2
	s_delay_alu instid0(VALU_DEP_2) | instskip(NEXT) | instid1(VALU_DEP_2)
	v_fma_f16 v2, v2, v4, -v5
	v_cvt_f32_f16_e32 v3, v6
	s_delay_alu instid0(VALU_DEP_2) | instskip(NEXT) | instid1(VALU_DEP_2)
	v_cvt_f32_f16_e32 v4, v2
	v_cvt_f64_f32_e32 v[2:3], v3
	s_delay_alu instid0(VALU_DEP_2) | instskip(NEXT) | instid1(VALU_DEP_2)
	v_cvt_f64_f32_e32 v[4:5], v4
	v_mul_f64 v[2:3], v[2:3], s[8:9]
	s_delay_alu instid0(VALU_DEP_2) | instskip(NEXT) | instid1(VALU_DEP_2)
	v_mul_f64 v[4:5], v[4:5], s[8:9]
	v_and_or_b32 v2, 0x1ff, v3, v2
	s_delay_alu instid0(VALU_DEP_2)
	v_and_or_b32 v4, 0x1ff, v5, v4
	v_lshrrev_b32_e32 v6, 8, v3
	v_bfe_u32 v7, v3, 20, 11
	v_lshrrev_b32_e32 v8, 8, v5
	v_cmp_ne_u32_e32 vcc_lo, 0, v2
	v_bfe_u32 v9, v5, 20, 11
	v_lshrrev_b32_e32 v3, 16, v3
	v_sub_nc_u32_e32 v10, 0x3f1, v7
	v_add_nc_u32_e32 v7, 0xfffffc10, v7
	v_cndmask_b32_e64 v2, 0, 1, vcc_lo
	v_cmp_ne_u32_e32 vcc_lo, 0, v4
	v_lshrrev_b32_e32 v5, 16, v5
	s_delay_alu instid0(VALU_DEP_3) | instskip(SKIP_3) | instid1(VALU_DEP_3)
	v_and_or_b32 v2, 0xffe, v6, v2
	v_cndmask_b32_e64 v4, 0, 1, vcc_lo
	v_sub_nc_u32_e32 v6, 0x3f1, v9
	v_add_nc_u32_e32 v9, 0xfffffc10, v9
	v_and_or_b32 v4, 0xffe, v8, v4
	v_med3_i32 v8, v10, 0, 13
	v_or_b32_e32 v10, 0x1000, v2
	v_med3_i32 v6, v6, 0, 13
	s_delay_alu instid0(VALU_DEP_4) | instskip(NEXT) | instid1(VALU_DEP_3)
	v_or_b32_e32 v11, 0x1000, v4
	v_lshrrev_b32_e32 v12, v8, v10
	s_delay_alu instid0(VALU_DEP_2) | instskip(NEXT) | instid1(VALU_DEP_2)
	v_lshrrev_b32_e32 v13, v6, v11
	v_lshlrev_b32_e32 v8, v8, v12
	s_delay_alu instid0(VALU_DEP_2) | instskip(NEXT) | instid1(VALU_DEP_2)
	v_lshlrev_b32_e32 v6, v6, v13
	v_cmp_ne_u32_e32 vcc_lo, v8, v10
	v_lshl_or_b32 v10, v7, 12, v2
	v_cndmask_b32_e64 v8, 0, 1, vcc_lo
	s_delay_alu instid0(VALU_DEP_4) | instskip(SKIP_1) | instid1(VALU_DEP_3)
	v_cmp_ne_u32_e32 vcc_lo, v6, v11
	v_lshl_or_b32 v11, v9, 12, v4
	v_or_b32_e32 v8, v12, v8
	v_cndmask_b32_e64 v6, 0, 1, vcc_lo
	v_cmp_gt_i32_e32 vcc_lo, 1, v7
	s_delay_alu instid0(VALU_DEP_2) | instskip(NEXT) | instid1(VALU_DEP_4)
	v_or_b32_e32 v6, v13, v6
	v_cndmask_b32_e32 v8, v10, v8, vcc_lo
	v_cmp_gt_i32_e32 vcc_lo, 1, v9
	s_delay_alu instid0(VALU_DEP_2) | instskip(NEXT) | instid1(VALU_DEP_4)
	v_and_b32_e32 v10, 7, v8
	v_cndmask_b32_e32 v6, v11, v6, vcc_lo
	v_cmp_ne_u32_e32 vcc_lo, 0, v2
	v_lshrrev_b32_e32 v8, 2, v8
	s_delay_alu instid0(VALU_DEP_4) | instskip(NEXT) | instid1(VALU_DEP_4)
	v_cmp_eq_u32_e64 s0, 3, v10
	v_and_b32_e32 v11, 7, v6
	v_cndmask_b32_e64 v2, 0, 1, vcc_lo
	v_cmp_ne_u32_e32 vcc_lo, 0, v4
	v_lshrrev_b32_e32 v6, 2, v6
	s_delay_alu instid0(VALU_DEP_4) | instskip(SKIP_4) | instid1(VALU_DEP_3)
	v_cmp_lt_i32_e64 s1, 5, v11
	v_cmp_eq_u32_e64 s2, 3, v11
	v_cndmask_b32_e64 v4, 0, 1, vcc_lo
	v_cmp_lt_i32_e32 vcc_lo, 5, v10
	v_lshl_or_b32 v2, v2, 9, 0x7c00
	v_lshl_or_b32 v4, v4, 9, 0x7c00
	s_or_b32 vcc_lo, s0, vcc_lo
	v_add_co_ci_u32_e32 v8, vcc_lo, 0, v8, vcc_lo
	s_or_b32 vcc_lo, s2, s1
	v_add_co_ci_u32_e32 v6, vcc_lo, 0, v6, vcc_lo
	v_cmp_gt_i32_e32 vcc_lo, 31, v7
	s_delay_alu instid0(VALU_DEP_3) | instskip(SKIP_1) | instid1(VALU_DEP_4)
	v_cndmask_b32_e32 v8, 0x7c00, v8, vcc_lo
	v_cmp_gt_i32_e32 vcc_lo, 31, v9
	v_cndmask_b32_e32 v6, 0x7c00, v6, vcc_lo
	v_cmp_eq_u32_e32 vcc_lo, 0x40f, v7
	s_delay_alu instid0(VALU_DEP_4) | instskip(SKIP_1) | instid1(VALU_DEP_2)
	v_cndmask_b32_e32 v2, v8, v2, vcc_lo
	v_cmp_eq_u32_e32 vcc_lo, 0x40f, v9
	v_and_or_b32 v2, 0x8000, v3, v2
	v_cndmask_b32_e32 v4, v6, v4, vcc_lo
	v_add_co_u32 v0, vcc_lo, v0, s4
	v_add_co_ci_u32_e32 v1, vcc_lo, s3, v1, vcc_lo
	s_delay_alu instid0(VALU_DEP_3) | instskip(SKIP_1) | instid1(VALU_DEP_1)
	v_and_or_b32 v3, 0x8000, v5, v4
	v_and_b32_e32 v2, 0xffff, v2
	v_lshl_or_b32 v2, v3, 16, v2
	global_store_b32 v[0:1], v2, off
	global_load_b32 v4, v36, s[12:13] offset:1848
	v_add_nc_u32_e32 v2, 0x600, v38
	ds_load_2addr_b32 v[2:3], v2 offset0:78 offset1:144
	s_waitcnt lgkmcnt(0)
	v_lshrrev_b32_e32 v5, 16, v2
	s_waitcnt vmcnt(0)
	v_lshrrev_b32_e32 v6, 16, v4
	s_delay_alu instid0(VALU_DEP_1) | instskip(SKIP_1) | instid1(VALU_DEP_2)
	v_mul_f16_e32 v7, v5, v6
	v_mul_f16_e32 v6, v2, v6
	v_fmac_f16_e32 v7, v2, v4
	s_delay_alu instid0(VALU_DEP_2) | instskip(NEXT) | instid1(VALU_DEP_2)
	v_fma_f16 v2, v4, v5, -v6
	v_cvt_f32_f16_e32 v4, v7
	s_delay_alu instid0(VALU_DEP_2) | instskip(NEXT) | instid1(VALU_DEP_2)
	v_cvt_f32_f16_e32 v2, v2
	v_cvt_f64_f32_e32 v[4:5], v4
	s_delay_alu instid0(VALU_DEP_2) | instskip(NEXT) | instid1(VALU_DEP_2)
	v_cvt_f64_f32_e32 v[6:7], v2
	v_mul_f64 v[4:5], v[4:5], s[8:9]
	s_delay_alu instid0(VALU_DEP_2) | instskip(NEXT) | instid1(VALU_DEP_2)
	v_mul_f64 v[6:7], v[6:7], s[8:9]
	v_and_or_b32 v2, 0x1ff, v5, v4
	s_delay_alu instid0(VALU_DEP_2)
	v_and_or_b32 v6, 0x1ff, v7, v6
	v_lshrrev_b32_e32 v4, 8, v5
	v_bfe_u32 v8, v5, 20, 11
	v_lshrrev_b32_e32 v9, 8, v7
	v_cmp_ne_u32_e32 vcc_lo, 0, v2
	v_bfe_u32 v10, v7, 20, 11
	v_lshrrev_b32_e32 v5, 16, v5
	v_sub_nc_u32_e32 v11, 0x3f1, v8
	v_add_nc_u32_e32 v8, 0xfffffc10, v8
	v_cndmask_b32_e64 v2, 0, 1, vcc_lo
	v_cmp_ne_u32_e32 vcc_lo, 0, v6
	v_lshrrev_b32_e32 v7, 16, v7
	s_delay_alu instid0(VALU_DEP_3) | instskip(SKIP_3) | instid1(VALU_DEP_3)
	v_and_or_b32 v2, 0xffe, v4, v2
	v_cndmask_b32_e64 v6, 0, 1, vcc_lo
	v_sub_nc_u32_e32 v4, 0x3f1, v10
	v_add_nc_u32_e32 v10, 0xfffffc10, v10
	v_and_or_b32 v6, 0xffe, v9, v6
	v_med3_i32 v9, v11, 0, 13
	v_or_b32_e32 v11, 0x1000, v2
	v_med3_i32 v4, v4, 0, 13
	s_delay_alu instid0(VALU_DEP_4) | instskip(NEXT) | instid1(VALU_DEP_3)
	v_or_b32_e32 v12, 0x1000, v6
	v_lshrrev_b32_e32 v13, v9, v11
	s_delay_alu instid0(VALU_DEP_2) | instskip(NEXT) | instid1(VALU_DEP_2)
	v_lshrrev_b32_e32 v14, v4, v12
	v_lshlrev_b32_e32 v9, v9, v13
	s_delay_alu instid0(VALU_DEP_2) | instskip(NEXT) | instid1(VALU_DEP_2)
	v_lshlrev_b32_e32 v4, v4, v14
	v_cmp_ne_u32_e32 vcc_lo, v9, v11
	v_lshl_or_b32 v11, v8, 12, v2
	v_cndmask_b32_e64 v9, 0, 1, vcc_lo
	s_delay_alu instid0(VALU_DEP_4) | instskip(SKIP_1) | instid1(VALU_DEP_3)
	v_cmp_ne_u32_e32 vcc_lo, v4, v12
	v_lshl_or_b32 v12, v10, 12, v6
	v_or_b32_e32 v9, v13, v9
	v_cndmask_b32_e64 v4, 0, 1, vcc_lo
	v_cmp_gt_i32_e32 vcc_lo, 1, v8
	s_delay_alu instid0(VALU_DEP_2) | instskip(NEXT) | instid1(VALU_DEP_4)
	v_or_b32_e32 v4, v14, v4
	v_cndmask_b32_e32 v9, v11, v9, vcc_lo
	v_cmp_gt_i32_e32 vcc_lo, 1, v10
	s_delay_alu instid0(VALU_DEP_2) | instskip(SKIP_2) | instid1(VALU_DEP_3)
	v_dual_cndmask_b32 v4, v12, v4 :: v_dual_and_b32 v11, 7, v9
	v_cmp_ne_u32_e32 vcc_lo, 0, v2
	v_lshrrev_b32_e32 v9, 2, v9
	v_cmp_eq_u32_e64 s0, 3, v11
	s_delay_alu instid0(VALU_DEP_4) | instskip(SKIP_3) | instid1(VALU_DEP_4)
	v_and_b32_e32 v12, 7, v4
	v_cndmask_b32_e64 v2, 0, 1, vcc_lo
	v_cmp_ne_u32_e32 vcc_lo, 0, v6
	v_lshrrev_b32_e32 v4, 2, v4
	v_cmp_lt_i32_e64 s1, 5, v12
	v_cmp_eq_u32_e64 s2, 3, v12
	v_cndmask_b32_e64 v6, 0, 1, vcc_lo
	v_cmp_lt_i32_e32 vcc_lo, 5, v11
	v_lshl_or_b32 v2, v2, 9, 0x7c00
	s_delay_alu instid0(VALU_DEP_3)
	v_lshl_or_b32 v6, v6, 9, 0x7c00
	s_or_b32 vcc_lo, s0, vcc_lo
	v_add_co_ci_u32_e32 v9, vcc_lo, 0, v9, vcc_lo
	s_or_b32 vcc_lo, s2, s1
	v_add_co_ci_u32_e32 v4, vcc_lo, 0, v4, vcc_lo
	v_cmp_gt_i32_e32 vcc_lo, 31, v8
	s_delay_alu instid0(VALU_DEP_3) | instskip(SKIP_1) | instid1(VALU_DEP_4)
	v_cndmask_b32_e32 v9, 0x7c00, v9, vcc_lo
	v_cmp_gt_i32_e32 vcc_lo, 31, v10
	v_cndmask_b32_e32 v4, 0x7c00, v4, vcc_lo
	v_cmp_eq_u32_e32 vcc_lo, 0x40f, v8
	s_delay_alu instid0(VALU_DEP_4) | instskip(SKIP_1) | instid1(VALU_DEP_2)
	v_cndmask_b32_e32 v2, v9, v2, vcc_lo
	v_cmp_eq_u32_e32 vcc_lo, 0x40f, v10
	v_and_or_b32 v2, 0x8000, v5, v2
	v_cndmask_b32_e32 v4, v4, v6, vcc_lo
	v_add_co_u32 v0, vcc_lo, v0, s4
	v_add_co_ci_u32_e32 v1, vcc_lo, s3, v1, vcc_lo
	s_delay_alu instid0(VALU_DEP_3) | instskip(SKIP_1) | instid1(VALU_DEP_1)
	v_and_or_b32 v4, 0x8000, v7, v4
	v_and_b32_e32 v2, 0xffff, v2
	v_lshl_or_b32 v2, v4, 16, v2
	v_lshrrev_b32_e32 v4, 16, v3
	global_store_b32 v[0:1], v2, off
	global_load_b32 v2, v36, s[12:13] offset:2112
	s_waitcnt vmcnt(0)
	v_lshrrev_b32_e32 v5, 16, v2
	s_delay_alu instid0(VALU_DEP_1) | instskip(SKIP_1) | instid1(VALU_DEP_2)
	v_mul_f16_e32 v6, v4, v5
	v_mul_f16_e32 v5, v3, v5
	v_fmac_f16_e32 v6, v3, v2
	s_delay_alu instid0(VALU_DEP_2) | instskip(NEXT) | instid1(VALU_DEP_2)
	v_fma_f16 v2, v2, v4, -v5
	v_cvt_f32_f16_e32 v3, v6
	s_delay_alu instid0(VALU_DEP_2) | instskip(NEXT) | instid1(VALU_DEP_2)
	v_cvt_f32_f16_e32 v4, v2
	v_cvt_f64_f32_e32 v[2:3], v3
	s_delay_alu instid0(VALU_DEP_2) | instskip(NEXT) | instid1(VALU_DEP_2)
	v_cvt_f64_f32_e32 v[4:5], v4
	v_mul_f64 v[2:3], v[2:3], s[8:9]
	s_delay_alu instid0(VALU_DEP_2) | instskip(NEXT) | instid1(VALU_DEP_2)
	v_mul_f64 v[4:5], v[4:5], s[8:9]
	v_and_or_b32 v2, 0x1ff, v3, v2
	s_delay_alu instid0(VALU_DEP_2)
	v_and_or_b32 v4, 0x1ff, v5, v4
	v_lshrrev_b32_e32 v6, 8, v3
	v_bfe_u32 v7, v3, 20, 11
	v_lshrrev_b32_e32 v8, 8, v5
	v_cmp_ne_u32_e32 vcc_lo, 0, v2
	v_bfe_u32 v9, v5, 20, 11
	v_lshrrev_b32_e32 v3, 16, v3
	v_sub_nc_u32_e32 v10, 0x3f1, v7
	v_add_nc_u32_e32 v7, 0xfffffc10, v7
	v_cndmask_b32_e64 v2, 0, 1, vcc_lo
	v_cmp_ne_u32_e32 vcc_lo, 0, v4
	v_lshrrev_b32_e32 v5, 16, v5
	s_delay_alu instid0(VALU_DEP_3) | instskip(SKIP_3) | instid1(VALU_DEP_3)
	v_and_or_b32 v2, 0xffe, v6, v2
	v_cndmask_b32_e64 v4, 0, 1, vcc_lo
	v_sub_nc_u32_e32 v6, 0x3f1, v9
	v_add_nc_u32_e32 v9, 0xfffffc10, v9
	v_and_or_b32 v4, 0xffe, v8, v4
	v_med3_i32 v8, v10, 0, 13
	v_or_b32_e32 v10, 0x1000, v2
	v_med3_i32 v6, v6, 0, 13
	s_delay_alu instid0(VALU_DEP_4) | instskip(NEXT) | instid1(VALU_DEP_3)
	v_or_b32_e32 v11, 0x1000, v4
	v_lshrrev_b32_e32 v12, v8, v10
	s_delay_alu instid0(VALU_DEP_2) | instskip(NEXT) | instid1(VALU_DEP_2)
	v_lshrrev_b32_e32 v13, v6, v11
	v_lshlrev_b32_e32 v8, v8, v12
	s_delay_alu instid0(VALU_DEP_2) | instskip(NEXT) | instid1(VALU_DEP_2)
	v_lshlrev_b32_e32 v6, v6, v13
	v_cmp_ne_u32_e32 vcc_lo, v8, v10
	v_lshl_or_b32 v10, v7, 12, v2
	v_cndmask_b32_e64 v8, 0, 1, vcc_lo
	s_delay_alu instid0(VALU_DEP_4) | instskip(SKIP_1) | instid1(VALU_DEP_3)
	v_cmp_ne_u32_e32 vcc_lo, v6, v11
	v_lshl_or_b32 v11, v9, 12, v4
	v_or_b32_e32 v8, v12, v8
	v_cndmask_b32_e64 v6, 0, 1, vcc_lo
	v_cmp_gt_i32_e32 vcc_lo, 1, v7
	s_delay_alu instid0(VALU_DEP_2) | instskip(NEXT) | instid1(VALU_DEP_4)
	v_or_b32_e32 v6, v13, v6
	v_cndmask_b32_e32 v8, v10, v8, vcc_lo
	v_cmp_gt_i32_e32 vcc_lo, 1, v9
	s_delay_alu instid0(VALU_DEP_2) | instskip(NEXT) | instid1(VALU_DEP_4)
	v_and_b32_e32 v10, 7, v8
	v_cndmask_b32_e32 v6, v11, v6, vcc_lo
	v_cmp_ne_u32_e32 vcc_lo, 0, v2
	v_lshrrev_b32_e32 v8, 2, v8
	s_delay_alu instid0(VALU_DEP_4) | instskip(NEXT) | instid1(VALU_DEP_4)
	v_cmp_eq_u32_e64 s0, 3, v10
	v_and_b32_e32 v11, 7, v6
	v_cndmask_b32_e64 v2, 0, 1, vcc_lo
	v_cmp_ne_u32_e32 vcc_lo, 0, v4
	v_lshrrev_b32_e32 v6, 2, v6
	s_delay_alu instid0(VALU_DEP_4) | instskip(SKIP_4) | instid1(VALU_DEP_3)
	v_cmp_lt_i32_e64 s1, 5, v11
	v_cmp_eq_u32_e64 s2, 3, v11
	v_cndmask_b32_e64 v4, 0, 1, vcc_lo
	v_cmp_lt_i32_e32 vcc_lo, 5, v10
	v_lshl_or_b32 v2, v2, 9, 0x7c00
	v_lshl_or_b32 v4, v4, 9, 0x7c00
	s_or_b32 vcc_lo, s0, vcc_lo
	v_add_co_ci_u32_e32 v8, vcc_lo, 0, v8, vcc_lo
	s_or_b32 vcc_lo, s2, s1
	v_add_co_ci_u32_e32 v6, vcc_lo, 0, v6, vcc_lo
	v_cmp_gt_i32_e32 vcc_lo, 31, v7
	s_delay_alu instid0(VALU_DEP_3) | instskip(SKIP_1) | instid1(VALU_DEP_4)
	v_cndmask_b32_e32 v8, 0x7c00, v8, vcc_lo
	v_cmp_gt_i32_e32 vcc_lo, 31, v9
	v_cndmask_b32_e32 v6, 0x7c00, v6, vcc_lo
	v_cmp_eq_u32_e32 vcc_lo, 0x40f, v7
	s_delay_alu instid0(VALU_DEP_4) | instskip(SKIP_1) | instid1(VALU_DEP_2)
	v_cndmask_b32_e32 v2, v8, v2, vcc_lo
	v_cmp_eq_u32_e32 vcc_lo, 0x40f, v9
	v_and_or_b32 v2, 0x8000, v3, v2
	v_cndmask_b32_e32 v4, v6, v4, vcc_lo
	v_add_co_u32 v0, vcc_lo, v0, s4
	v_add_co_ci_u32_e32 v1, vcc_lo, s3, v1, vcc_lo
	s_delay_alu instid0(VALU_DEP_3) | instskip(SKIP_1) | instid1(VALU_DEP_1)
	v_and_or_b32 v3, 0x8000, v5, v4
	v_and_b32_e32 v2, 0xffff, v2
	v_lshl_or_b32 v2, v3, 16, v2
	global_store_b32 v[0:1], v2, off
	global_load_b32 v4, v36, s[12:13] offset:2376
	v_add_nc_u32_e32 v2, 0x800, v38
	ds_load_2addr_b32 v[2:3], v2 offset0:82 offset1:148
	s_waitcnt lgkmcnt(0)
	v_lshrrev_b32_e32 v5, 16, v2
	s_waitcnt vmcnt(0)
	v_lshrrev_b32_e32 v6, 16, v4
	s_delay_alu instid0(VALU_DEP_1) | instskip(SKIP_1) | instid1(VALU_DEP_2)
	v_mul_f16_e32 v7, v5, v6
	v_mul_f16_e32 v6, v2, v6
	v_fmac_f16_e32 v7, v2, v4
	s_delay_alu instid0(VALU_DEP_2) | instskip(NEXT) | instid1(VALU_DEP_2)
	v_fma_f16 v2, v4, v5, -v6
	v_cvt_f32_f16_e32 v4, v7
	s_delay_alu instid0(VALU_DEP_2) | instskip(NEXT) | instid1(VALU_DEP_2)
	v_cvt_f32_f16_e32 v2, v2
	v_cvt_f64_f32_e32 v[4:5], v4
	s_delay_alu instid0(VALU_DEP_2) | instskip(NEXT) | instid1(VALU_DEP_2)
	v_cvt_f64_f32_e32 v[6:7], v2
	v_mul_f64 v[4:5], v[4:5], s[8:9]
	s_delay_alu instid0(VALU_DEP_2) | instskip(NEXT) | instid1(VALU_DEP_2)
	v_mul_f64 v[6:7], v[6:7], s[8:9]
	v_and_or_b32 v2, 0x1ff, v5, v4
	s_delay_alu instid0(VALU_DEP_2)
	v_and_or_b32 v6, 0x1ff, v7, v6
	v_lshrrev_b32_e32 v4, 8, v5
	v_bfe_u32 v8, v5, 20, 11
	v_lshrrev_b32_e32 v9, 8, v7
	v_cmp_ne_u32_e32 vcc_lo, 0, v2
	v_bfe_u32 v10, v7, 20, 11
	v_lshrrev_b32_e32 v5, 16, v5
	v_sub_nc_u32_e32 v11, 0x3f1, v8
	v_add_nc_u32_e32 v8, 0xfffffc10, v8
	v_cndmask_b32_e64 v2, 0, 1, vcc_lo
	v_cmp_ne_u32_e32 vcc_lo, 0, v6
	v_lshrrev_b32_e32 v7, 16, v7
	s_delay_alu instid0(VALU_DEP_3) | instskip(SKIP_3) | instid1(VALU_DEP_3)
	v_and_or_b32 v2, 0xffe, v4, v2
	v_cndmask_b32_e64 v6, 0, 1, vcc_lo
	v_sub_nc_u32_e32 v4, 0x3f1, v10
	v_add_nc_u32_e32 v10, 0xfffffc10, v10
	v_and_or_b32 v6, 0xffe, v9, v6
	v_med3_i32 v9, v11, 0, 13
	v_or_b32_e32 v11, 0x1000, v2
	v_med3_i32 v4, v4, 0, 13
	s_delay_alu instid0(VALU_DEP_4) | instskip(NEXT) | instid1(VALU_DEP_3)
	v_or_b32_e32 v12, 0x1000, v6
	v_lshrrev_b32_e32 v13, v9, v11
	s_delay_alu instid0(VALU_DEP_2) | instskip(NEXT) | instid1(VALU_DEP_2)
	v_lshrrev_b32_e32 v14, v4, v12
	v_lshlrev_b32_e32 v9, v9, v13
	s_delay_alu instid0(VALU_DEP_2) | instskip(NEXT) | instid1(VALU_DEP_2)
	v_lshlrev_b32_e32 v4, v4, v14
	v_cmp_ne_u32_e32 vcc_lo, v9, v11
	v_lshl_or_b32 v11, v8, 12, v2
	v_cndmask_b32_e64 v9, 0, 1, vcc_lo
	s_delay_alu instid0(VALU_DEP_4) | instskip(SKIP_1) | instid1(VALU_DEP_3)
	v_cmp_ne_u32_e32 vcc_lo, v4, v12
	v_lshl_or_b32 v12, v10, 12, v6
	v_or_b32_e32 v9, v13, v9
	v_cndmask_b32_e64 v4, 0, 1, vcc_lo
	v_cmp_gt_i32_e32 vcc_lo, 1, v8
	s_delay_alu instid0(VALU_DEP_2) | instskip(NEXT) | instid1(VALU_DEP_4)
	v_or_b32_e32 v4, v14, v4
	v_cndmask_b32_e32 v9, v11, v9, vcc_lo
	v_cmp_gt_i32_e32 vcc_lo, 1, v10
	s_delay_alu instid0(VALU_DEP_2) | instskip(SKIP_2) | instid1(VALU_DEP_3)
	v_dual_cndmask_b32 v4, v12, v4 :: v_dual_and_b32 v11, 7, v9
	v_cmp_ne_u32_e32 vcc_lo, 0, v2
	v_lshrrev_b32_e32 v9, 2, v9
	v_cmp_eq_u32_e64 s0, 3, v11
	s_delay_alu instid0(VALU_DEP_4) | instskip(SKIP_3) | instid1(VALU_DEP_4)
	v_and_b32_e32 v12, 7, v4
	v_cndmask_b32_e64 v2, 0, 1, vcc_lo
	v_cmp_ne_u32_e32 vcc_lo, 0, v6
	v_lshrrev_b32_e32 v4, 2, v4
	v_cmp_lt_i32_e64 s1, 5, v12
	v_cmp_eq_u32_e64 s2, 3, v12
	v_cndmask_b32_e64 v6, 0, 1, vcc_lo
	v_cmp_lt_i32_e32 vcc_lo, 5, v11
	v_lshl_or_b32 v2, v2, 9, 0x7c00
	s_delay_alu instid0(VALU_DEP_3)
	v_lshl_or_b32 v6, v6, 9, 0x7c00
	s_or_b32 vcc_lo, s0, vcc_lo
	v_add_co_ci_u32_e32 v9, vcc_lo, 0, v9, vcc_lo
	s_or_b32 vcc_lo, s2, s1
	v_add_co_ci_u32_e32 v4, vcc_lo, 0, v4, vcc_lo
	v_cmp_gt_i32_e32 vcc_lo, 31, v8
	s_delay_alu instid0(VALU_DEP_3) | instskip(SKIP_1) | instid1(VALU_DEP_4)
	v_cndmask_b32_e32 v9, 0x7c00, v9, vcc_lo
	v_cmp_gt_i32_e32 vcc_lo, 31, v10
	v_cndmask_b32_e32 v4, 0x7c00, v4, vcc_lo
	v_cmp_eq_u32_e32 vcc_lo, 0x40f, v8
	s_delay_alu instid0(VALU_DEP_4) | instskip(SKIP_1) | instid1(VALU_DEP_2)
	v_cndmask_b32_e32 v2, v9, v2, vcc_lo
	v_cmp_eq_u32_e32 vcc_lo, 0x40f, v10
	v_and_or_b32 v2, 0x8000, v5, v2
	v_cndmask_b32_e32 v4, v4, v6, vcc_lo
	v_add_co_u32 v0, vcc_lo, v0, s4
	v_add_co_ci_u32_e32 v1, vcc_lo, s3, v1, vcc_lo
	s_delay_alu instid0(VALU_DEP_3) | instskip(SKIP_1) | instid1(VALU_DEP_1)
	v_and_or_b32 v4, 0x8000, v7, v4
	v_and_b32_e32 v2, 0xffff, v2
	v_lshl_or_b32 v2, v4, 16, v2
	v_lshrrev_b32_e32 v4, 16, v3
	global_store_b32 v[0:1], v2, off
	global_load_b32 v2, v36, s[12:13] offset:2640
	s_waitcnt vmcnt(0)
	v_lshrrev_b32_e32 v5, 16, v2
	s_delay_alu instid0(VALU_DEP_1) | instskip(SKIP_1) | instid1(VALU_DEP_2)
	v_mul_f16_e32 v6, v4, v5
	v_mul_f16_e32 v5, v3, v5
	v_fmac_f16_e32 v6, v3, v2
	s_delay_alu instid0(VALU_DEP_2) | instskip(NEXT) | instid1(VALU_DEP_2)
	v_fma_f16 v2, v2, v4, -v5
	v_cvt_f32_f16_e32 v3, v6
	s_delay_alu instid0(VALU_DEP_2) | instskip(NEXT) | instid1(VALU_DEP_2)
	v_cvt_f32_f16_e32 v4, v2
	v_cvt_f64_f32_e32 v[2:3], v3
	s_delay_alu instid0(VALU_DEP_2) | instskip(NEXT) | instid1(VALU_DEP_2)
	v_cvt_f64_f32_e32 v[4:5], v4
	v_mul_f64 v[2:3], v[2:3], s[8:9]
	s_delay_alu instid0(VALU_DEP_2) | instskip(NEXT) | instid1(VALU_DEP_2)
	v_mul_f64 v[4:5], v[4:5], s[8:9]
	v_and_or_b32 v2, 0x1ff, v3, v2
	s_delay_alu instid0(VALU_DEP_2)
	v_and_or_b32 v4, 0x1ff, v5, v4
	v_lshrrev_b32_e32 v6, 8, v3
	v_bfe_u32 v7, v3, 20, 11
	v_lshrrev_b32_e32 v8, 8, v5
	v_cmp_ne_u32_e32 vcc_lo, 0, v2
	v_bfe_u32 v9, v5, 20, 11
	v_lshrrev_b32_e32 v3, 16, v3
	v_sub_nc_u32_e32 v10, 0x3f1, v7
	v_add_nc_u32_e32 v7, 0xfffffc10, v7
	v_cndmask_b32_e64 v2, 0, 1, vcc_lo
	v_cmp_ne_u32_e32 vcc_lo, 0, v4
	v_lshrrev_b32_e32 v5, 16, v5
	s_delay_alu instid0(VALU_DEP_3) | instskip(SKIP_3) | instid1(VALU_DEP_3)
	v_and_or_b32 v2, 0xffe, v6, v2
	v_cndmask_b32_e64 v4, 0, 1, vcc_lo
	v_sub_nc_u32_e32 v6, 0x3f1, v9
	v_add_nc_u32_e32 v9, 0xfffffc10, v9
	v_and_or_b32 v4, 0xffe, v8, v4
	v_med3_i32 v8, v10, 0, 13
	v_or_b32_e32 v10, 0x1000, v2
	v_med3_i32 v6, v6, 0, 13
	s_delay_alu instid0(VALU_DEP_4) | instskip(NEXT) | instid1(VALU_DEP_3)
	v_or_b32_e32 v11, 0x1000, v4
	v_lshrrev_b32_e32 v12, v8, v10
	s_delay_alu instid0(VALU_DEP_2) | instskip(NEXT) | instid1(VALU_DEP_2)
	v_lshrrev_b32_e32 v13, v6, v11
	v_lshlrev_b32_e32 v8, v8, v12
	s_delay_alu instid0(VALU_DEP_2) | instskip(NEXT) | instid1(VALU_DEP_2)
	v_lshlrev_b32_e32 v6, v6, v13
	v_cmp_ne_u32_e32 vcc_lo, v8, v10
	v_lshl_or_b32 v10, v7, 12, v2
	v_cndmask_b32_e64 v8, 0, 1, vcc_lo
	s_delay_alu instid0(VALU_DEP_4) | instskip(SKIP_1) | instid1(VALU_DEP_3)
	v_cmp_ne_u32_e32 vcc_lo, v6, v11
	v_lshl_or_b32 v11, v9, 12, v4
	v_or_b32_e32 v8, v12, v8
	v_cndmask_b32_e64 v6, 0, 1, vcc_lo
	v_cmp_gt_i32_e32 vcc_lo, 1, v7
	s_delay_alu instid0(VALU_DEP_2) | instskip(NEXT) | instid1(VALU_DEP_4)
	v_or_b32_e32 v6, v13, v6
	v_cndmask_b32_e32 v8, v10, v8, vcc_lo
	v_cmp_gt_i32_e32 vcc_lo, 1, v9
	s_delay_alu instid0(VALU_DEP_2) | instskip(NEXT) | instid1(VALU_DEP_4)
	v_and_b32_e32 v10, 7, v8
	v_cndmask_b32_e32 v6, v11, v6, vcc_lo
	v_cmp_ne_u32_e32 vcc_lo, 0, v2
	v_lshrrev_b32_e32 v8, 2, v8
	s_delay_alu instid0(VALU_DEP_4) | instskip(NEXT) | instid1(VALU_DEP_4)
	v_cmp_eq_u32_e64 s0, 3, v10
	v_and_b32_e32 v11, 7, v6
	v_cndmask_b32_e64 v2, 0, 1, vcc_lo
	v_cmp_ne_u32_e32 vcc_lo, 0, v4
	v_lshrrev_b32_e32 v6, 2, v6
	s_delay_alu instid0(VALU_DEP_4) | instskip(SKIP_4) | instid1(VALU_DEP_3)
	v_cmp_lt_i32_e64 s1, 5, v11
	v_cmp_eq_u32_e64 s2, 3, v11
	v_cndmask_b32_e64 v4, 0, 1, vcc_lo
	v_cmp_lt_i32_e32 vcc_lo, 5, v10
	v_lshl_or_b32 v2, v2, 9, 0x7c00
	v_lshl_or_b32 v4, v4, 9, 0x7c00
	s_or_b32 vcc_lo, s0, vcc_lo
	v_add_co_ci_u32_e32 v8, vcc_lo, 0, v8, vcc_lo
	s_or_b32 vcc_lo, s2, s1
	v_add_co_ci_u32_e32 v6, vcc_lo, 0, v6, vcc_lo
	v_cmp_gt_i32_e32 vcc_lo, 31, v7
	s_delay_alu instid0(VALU_DEP_3) | instskip(SKIP_1) | instid1(VALU_DEP_4)
	v_cndmask_b32_e32 v8, 0x7c00, v8, vcc_lo
	v_cmp_gt_i32_e32 vcc_lo, 31, v9
	v_cndmask_b32_e32 v6, 0x7c00, v6, vcc_lo
	v_cmp_eq_u32_e32 vcc_lo, 0x40f, v7
	s_delay_alu instid0(VALU_DEP_4) | instskip(SKIP_1) | instid1(VALU_DEP_2)
	v_cndmask_b32_e32 v2, v8, v2, vcc_lo
	v_cmp_eq_u32_e32 vcc_lo, 0x40f, v9
	v_and_or_b32 v2, 0x8000, v3, v2
	v_cndmask_b32_e32 v4, v6, v4, vcc_lo
	v_add_co_u32 v0, vcc_lo, v0, s4
	v_add_co_ci_u32_e32 v1, vcc_lo, s3, v1, vcc_lo
	s_delay_alu instid0(VALU_DEP_3) | instskip(SKIP_1) | instid1(VALU_DEP_1)
	v_and_or_b32 v3, 0x8000, v5, v4
	v_and_b32_e32 v2, 0xffff, v2
	v_lshl_or_b32 v2, v3, 16, v2
	global_store_b32 v[0:1], v2, off
	global_load_b32 v4, v36, s[12:13] offset:2904
	v_add_nc_u32_e32 v2, 0xa00, v38
	ds_load_2addr_b32 v[2:3], v2 offset0:86 offset1:152
	s_waitcnt lgkmcnt(0)
	v_lshrrev_b32_e32 v5, 16, v2
	s_waitcnt vmcnt(0)
	v_lshrrev_b32_e32 v6, 16, v4
	s_delay_alu instid0(VALU_DEP_1) | instskip(SKIP_1) | instid1(VALU_DEP_2)
	v_mul_f16_e32 v7, v5, v6
	v_mul_f16_e32 v6, v2, v6
	v_fmac_f16_e32 v7, v2, v4
	s_delay_alu instid0(VALU_DEP_2) | instskip(NEXT) | instid1(VALU_DEP_2)
	v_fma_f16 v2, v4, v5, -v6
	v_cvt_f32_f16_e32 v4, v7
	s_delay_alu instid0(VALU_DEP_2) | instskip(NEXT) | instid1(VALU_DEP_2)
	v_cvt_f32_f16_e32 v2, v2
	v_cvt_f64_f32_e32 v[4:5], v4
	s_delay_alu instid0(VALU_DEP_2) | instskip(NEXT) | instid1(VALU_DEP_2)
	v_cvt_f64_f32_e32 v[6:7], v2
	v_mul_f64 v[4:5], v[4:5], s[8:9]
	s_delay_alu instid0(VALU_DEP_2) | instskip(NEXT) | instid1(VALU_DEP_2)
	v_mul_f64 v[6:7], v[6:7], s[8:9]
	v_and_or_b32 v2, 0x1ff, v5, v4
	s_delay_alu instid0(VALU_DEP_2)
	v_and_or_b32 v6, 0x1ff, v7, v6
	v_lshrrev_b32_e32 v4, 8, v5
	v_bfe_u32 v8, v5, 20, 11
	v_lshrrev_b32_e32 v9, 8, v7
	v_cmp_ne_u32_e32 vcc_lo, 0, v2
	v_bfe_u32 v10, v7, 20, 11
	v_lshrrev_b32_e32 v5, 16, v5
	v_sub_nc_u32_e32 v11, 0x3f1, v8
	v_add_nc_u32_e32 v8, 0xfffffc10, v8
	v_cndmask_b32_e64 v2, 0, 1, vcc_lo
	v_cmp_ne_u32_e32 vcc_lo, 0, v6
	v_lshrrev_b32_e32 v7, 16, v7
	s_delay_alu instid0(VALU_DEP_3) | instskip(SKIP_3) | instid1(VALU_DEP_3)
	v_and_or_b32 v2, 0xffe, v4, v2
	v_cndmask_b32_e64 v6, 0, 1, vcc_lo
	v_sub_nc_u32_e32 v4, 0x3f1, v10
	v_add_nc_u32_e32 v10, 0xfffffc10, v10
	v_and_or_b32 v6, 0xffe, v9, v6
	v_med3_i32 v9, v11, 0, 13
	v_or_b32_e32 v11, 0x1000, v2
	v_med3_i32 v4, v4, 0, 13
	s_delay_alu instid0(VALU_DEP_4) | instskip(NEXT) | instid1(VALU_DEP_3)
	v_or_b32_e32 v12, 0x1000, v6
	v_lshrrev_b32_e32 v13, v9, v11
	s_delay_alu instid0(VALU_DEP_2) | instskip(NEXT) | instid1(VALU_DEP_2)
	v_lshrrev_b32_e32 v14, v4, v12
	v_lshlrev_b32_e32 v9, v9, v13
	s_delay_alu instid0(VALU_DEP_2) | instskip(NEXT) | instid1(VALU_DEP_2)
	v_lshlrev_b32_e32 v4, v4, v14
	v_cmp_ne_u32_e32 vcc_lo, v9, v11
	v_lshl_or_b32 v11, v8, 12, v2
	v_cndmask_b32_e64 v9, 0, 1, vcc_lo
	s_delay_alu instid0(VALU_DEP_4) | instskip(SKIP_1) | instid1(VALU_DEP_3)
	v_cmp_ne_u32_e32 vcc_lo, v4, v12
	v_lshl_or_b32 v12, v10, 12, v6
	v_or_b32_e32 v9, v13, v9
	v_cndmask_b32_e64 v4, 0, 1, vcc_lo
	v_cmp_gt_i32_e32 vcc_lo, 1, v8
	s_delay_alu instid0(VALU_DEP_2) | instskip(NEXT) | instid1(VALU_DEP_4)
	v_or_b32_e32 v4, v14, v4
	v_cndmask_b32_e32 v9, v11, v9, vcc_lo
	v_cmp_gt_i32_e32 vcc_lo, 1, v10
	s_delay_alu instid0(VALU_DEP_2) | instskip(SKIP_2) | instid1(VALU_DEP_3)
	v_dual_cndmask_b32 v4, v12, v4 :: v_dual_and_b32 v11, 7, v9
	v_cmp_ne_u32_e32 vcc_lo, 0, v2
	v_lshrrev_b32_e32 v9, 2, v9
	v_cmp_eq_u32_e64 s0, 3, v11
	s_delay_alu instid0(VALU_DEP_4) | instskip(SKIP_3) | instid1(VALU_DEP_4)
	v_and_b32_e32 v12, 7, v4
	v_cndmask_b32_e64 v2, 0, 1, vcc_lo
	v_cmp_ne_u32_e32 vcc_lo, 0, v6
	v_lshrrev_b32_e32 v4, 2, v4
	v_cmp_lt_i32_e64 s1, 5, v12
	v_cmp_eq_u32_e64 s2, 3, v12
	v_cndmask_b32_e64 v6, 0, 1, vcc_lo
	v_cmp_lt_i32_e32 vcc_lo, 5, v11
	v_lshl_or_b32 v2, v2, 9, 0x7c00
	s_delay_alu instid0(VALU_DEP_3)
	v_lshl_or_b32 v6, v6, 9, 0x7c00
	s_or_b32 vcc_lo, s0, vcc_lo
	v_add_co_ci_u32_e32 v9, vcc_lo, 0, v9, vcc_lo
	s_or_b32 vcc_lo, s2, s1
	v_add_co_ci_u32_e32 v4, vcc_lo, 0, v4, vcc_lo
	v_cmp_gt_i32_e32 vcc_lo, 31, v8
	s_delay_alu instid0(VALU_DEP_3) | instskip(SKIP_1) | instid1(VALU_DEP_4)
	v_cndmask_b32_e32 v9, 0x7c00, v9, vcc_lo
	v_cmp_gt_i32_e32 vcc_lo, 31, v10
	v_cndmask_b32_e32 v4, 0x7c00, v4, vcc_lo
	v_cmp_eq_u32_e32 vcc_lo, 0x40f, v8
	s_delay_alu instid0(VALU_DEP_4) | instskip(SKIP_1) | instid1(VALU_DEP_2)
	v_cndmask_b32_e32 v2, v9, v2, vcc_lo
	v_cmp_eq_u32_e32 vcc_lo, 0x40f, v10
	v_and_or_b32 v2, 0x8000, v5, v2
	v_cndmask_b32_e32 v4, v4, v6, vcc_lo
	v_add_co_u32 v0, vcc_lo, v0, s4
	v_add_co_ci_u32_e32 v1, vcc_lo, s3, v1, vcc_lo
	s_delay_alu instid0(VALU_DEP_3) | instskip(SKIP_1) | instid1(VALU_DEP_1)
	v_and_or_b32 v4, 0x8000, v7, v4
	v_and_b32_e32 v2, 0xffff, v2
	v_lshl_or_b32 v2, v4, 16, v2
	v_lshrrev_b32_e32 v4, 16, v3
	global_store_b32 v[0:1], v2, off
	global_load_b32 v2, v36, s[12:13] offset:3168
	s_waitcnt vmcnt(0)
	v_lshrrev_b32_e32 v5, 16, v2
	s_delay_alu instid0(VALU_DEP_1) | instskip(SKIP_1) | instid1(VALU_DEP_2)
	v_mul_f16_e32 v6, v4, v5
	v_mul_f16_e32 v5, v3, v5
	v_fmac_f16_e32 v6, v3, v2
	s_delay_alu instid0(VALU_DEP_2) | instskip(NEXT) | instid1(VALU_DEP_2)
	v_fma_f16 v2, v2, v4, -v5
	v_cvt_f32_f16_e32 v3, v6
	s_delay_alu instid0(VALU_DEP_2) | instskip(NEXT) | instid1(VALU_DEP_2)
	v_cvt_f32_f16_e32 v4, v2
	v_cvt_f64_f32_e32 v[2:3], v3
	s_delay_alu instid0(VALU_DEP_2) | instskip(NEXT) | instid1(VALU_DEP_2)
	v_cvt_f64_f32_e32 v[4:5], v4
	v_mul_f64 v[2:3], v[2:3], s[8:9]
	s_delay_alu instid0(VALU_DEP_2) | instskip(NEXT) | instid1(VALU_DEP_2)
	v_mul_f64 v[4:5], v[4:5], s[8:9]
	v_and_or_b32 v2, 0x1ff, v3, v2
	s_delay_alu instid0(VALU_DEP_2)
	v_and_or_b32 v4, 0x1ff, v5, v4
	v_lshrrev_b32_e32 v6, 8, v3
	v_bfe_u32 v7, v3, 20, 11
	v_lshrrev_b32_e32 v8, 8, v5
	v_cmp_ne_u32_e32 vcc_lo, 0, v2
	v_bfe_u32 v9, v5, 20, 11
	v_lshrrev_b32_e32 v3, 16, v3
	v_sub_nc_u32_e32 v10, 0x3f1, v7
	v_add_nc_u32_e32 v7, 0xfffffc10, v7
	v_cndmask_b32_e64 v2, 0, 1, vcc_lo
	v_cmp_ne_u32_e32 vcc_lo, 0, v4
	v_lshrrev_b32_e32 v5, 16, v5
	s_delay_alu instid0(VALU_DEP_3) | instskip(SKIP_3) | instid1(VALU_DEP_3)
	v_and_or_b32 v2, 0xffe, v6, v2
	v_cndmask_b32_e64 v4, 0, 1, vcc_lo
	v_sub_nc_u32_e32 v6, 0x3f1, v9
	v_add_nc_u32_e32 v9, 0xfffffc10, v9
	v_and_or_b32 v4, 0xffe, v8, v4
	v_med3_i32 v8, v10, 0, 13
	v_or_b32_e32 v10, 0x1000, v2
	v_med3_i32 v6, v6, 0, 13
	s_delay_alu instid0(VALU_DEP_4) | instskip(NEXT) | instid1(VALU_DEP_3)
	v_or_b32_e32 v11, 0x1000, v4
	v_lshrrev_b32_e32 v12, v8, v10
	s_delay_alu instid0(VALU_DEP_2) | instskip(NEXT) | instid1(VALU_DEP_2)
	v_lshrrev_b32_e32 v13, v6, v11
	v_lshlrev_b32_e32 v8, v8, v12
	s_delay_alu instid0(VALU_DEP_2) | instskip(NEXT) | instid1(VALU_DEP_2)
	v_lshlrev_b32_e32 v6, v6, v13
	v_cmp_ne_u32_e32 vcc_lo, v8, v10
	v_lshl_or_b32 v10, v7, 12, v2
	v_cndmask_b32_e64 v8, 0, 1, vcc_lo
	s_delay_alu instid0(VALU_DEP_4) | instskip(SKIP_1) | instid1(VALU_DEP_3)
	v_cmp_ne_u32_e32 vcc_lo, v6, v11
	v_lshl_or_b32 v11, v9, 12, v4
	v_or_b32_e32 v8, v12, v8
	v_cndmask_b32_e64 v6, 0, 1, vcc_lo
	v_cmp_gt_i32_e32 vcc_lo, 1, v7
	s_delay_alu instid0(VALU_DEP_2) | instskip(NEXT) | instid1(VALU_DEP_4)
	v_or_b32_e32 v6, v13, v6
	v_cndmask_b32_e32 v8, v10, v8, vcc_lo
	v_cmp_gt_i32_e32 vcc_lo, 1, v9
	s_delay_alu instid0(VALU_DEP_2) | instskip(NEXT) | instid1(VALU_DEP_4)
	v_and_b32_e32 v10, 7, v8
	v_cndmask_b32_e32 v6, v11, v6, vcc_lo
	v_cmp_ne_u32_e32 vcc_lo, 0, v2
	v_lshrrev_b32_e32 v8, 2, v8
	s_delay_alu instid0(VALU_DEP_4) | instskip(NEXT) | instid1(VALU_DEP_4)
	v_cmp_eq_u32_e64 s0, 3, v10
	v_and_b32_e32 v11, 7, v6
	v_cndmask_b32_e64 v2, 0, 1, vcc_lo
	v_cmp_ne_u32_e32 vcc_lo, 0, v4
	v_lshrrev_b32_e32 v6, 2, v6
	s_delay_alu instid0(VALU_DEP_4) | instskip(SKIP_4) | instid1(VALU_DEP_3)
	v_cmp_lt_i32_e64 s1, 5, v11
	v_cmp_eq_u32_e64 s2, 3, v11
	v_cndmask_b32_e64 v4, 0, 1, vcc_lo
	v_cmp_lt_i32_e32 vcc_lo, 5, v10
	v_lshl_or_b32 v2, v2, 9, 0x7c00
	v_lshl_or_b32 v4, v4, 9, 0x7c00
	s_or_b32 vcc_lo, s0, vcc_lo
	v_add_co_ci_u32_e32 v8, vcc_lo, 0, v8, vcc_lo
	s_or_b32 vcc_lo, s2, s1
	v_add_co_ci_u32_e32 v6, vcc_lo, 0, v6, vcc_lo
	v_cmp_gt_i32_e32 vcc_lo, 31, v7
	s_delay_alu instid0(VALU_DEP_3) | instskip(SKIP_1) | instid1(VALU_DEP_4)
	v_cndmask_b32_e32 v8, 0x7c00, v8, vcc_lo
	v_cmp_gt_i32_e32 vcc_lo, 31, v9
	v_cndmask_b32_e32 v6, 0x7c00, v6, vcc_lo
	v_cmp_eq_u32_e32 vcc_lo, 0x40f, v7
	s_delay_alu instid0(VALU_DEP_4) | instskip(SKIP_1) | instid1(VALU_DEP_2)
	v_cndmask_b32_e32 v2, v8, v2, vcc_lo
	v_cmp_eq_u32_e32 vcc_lo, 0x40f, v9
	v_and_or_b32 v2, 0x8000, v3, v2
	v_cndmask_b32_e32 v4, v6, v4, vcc_lo
	v_add_co_u32 v0, vcc_lo, v0, s4
	v_add_co_ci_u32_e32 v1, vcc_lo, s3, v1, vcc_lo
	s_delay_alu instid0(VALU_DEP_3) | instskip(SKIP_1) | instid1(VALU_DEP_1)
	v_and_or_b32 v3, 0x8000, v5, v4
	v_and_b32_e32 v2, 0xffff, v2
	v_lshl_or_b32 v2, v3, 16, v2
	global_store_b32 v[0:1], v2, off
	global_load_b32 v4, v36, s[12:13] offset:3432
	v_add_nc_u32_e32 v2, 0xc00, v38
	ds_load_2addr_b32 v[2:3], v2 offset0:90 offset1:156
	s_waitcnt lgkmcnt(0)
	v_lshrrev_b32_e32 v5, 16, v2
	s_waitcnt vmcnt(0)
	v_lshrrev_b32_e32 v6, 16, v4
	s_delay_alu instid0(VALU_DEP_1) | instskip(SKIP_1) | instid1(VALU_DEP_2)
	v_mul_f16_e32 v7, v5, v6
	v_mul_f16_e32 v6, v2, v6
	v_fmac_f16_e32 v7, v2, v4
	s_delay_alu instid0(VALU_DEP_2) | instskip(NEXT) | instid1(VALU_DEP_2)
	v_fma_f16 v2, v4, v5, -v6
	v_cvt_f32_f16_e32 v4, v7
	s_delay_alu instid0(VALU_DEP_2) | instskip(NEXT) | instid1(VALU_DEP_2)
	v_cvt_f32_f16_e32 v2, v2
	v_cvt_f64_f32_e32 v[4:5], v4
	s_delay_alu instid0(VALU_DEP_2) | instskip(NEXT) | instid1(VALU_DEP_2)
	v_cvt_f64_f32_e32 v[6:7], v2
	v_mul_f64 v[4:5], v[4:5], s[8:9]
	s_delay_alu instid0(VALU_DEP_2) | instskip(NEXT) | instid1(VALU_DEP_2)
	v_mul_f64 v[6:7], v[6:7], s[8:9]
	v_and_or_b32 v2, 0x1ff, v5, v4
	s_delay_alu instid0(VALU_DEP_2)
	v_and_or_b32 v6, 0x1ff, v7, v6
	v_lshrrev_b32_e32 v4, 8, v5
	v_bfe_u32 v8, v5, 20, 11
	v_lshrrev_b32_e32 v9, 8, v7
	v_cmp_ne_u32_e32 vcc_lo, 0, v2
	v_bfe_u32 v10, v7, 20, 11
	v_lshrrev_b32_e32 v5, 16, v5
	v_sub_nc_u32_e32 v11, 0x3f1, v8
	v_add_nc_u32_e32 v8, 0xfffffc10, v8
	v_cndmask_b32_e64 v2, 0, 1, vcc_lo
	v_cmp_ne_u32_e32 vcc_lo, 0, v6
	v_lshrrev_b32_e32 v7, 16, v7
	s_delay_alu instid0(VALU_DEP_3) | instskip(SKIP_3) | instid1(VALU_DEP_3)
	v_and_or_b32 v2, 0xffe, v4, v2
	v_cndmask_b32_e64 v6, 0, 1, vcc_lo
	v_sub_nc_u32_e32 v4, 0x3f1, v10
	v_add_nc_u32_e32 v10, 0xfffffc10, v10
	v_and_or_b32 v6, 0xffe, v9, v6
	v_med3_i32 v9, v11, 0, 13
	v_or_b32_e32 v11, 0x1000, v2
	v_med3_i32 v4, v4, 0, 13
	s_delay_alu instid0(VALU_DEP_4) | instskip(NEXT) | instid1(VALU_DEP_3)
	v_or_b32_e32 v12, 0x1000, v6
	v_lshrrev_b32_e32 v13, v9, v11
	s_delay_alu instid0(VALU_DEP_2) | instskip(NEXT) | instid1(VALU_DEP_2)
	v_lshrrev_b32_e32 v14, v4, v12
	v_lshlrev_b32_e32 v9, v9, v13
	s_delay_alu instid0(VALU_DEP_2) | instskip(NEXT) | instid1(VALU_DEP_2)
	v_lshlrev_b32_e32 v4, v4, v14
	v_cmp_ne_u32_e32 vcc_lo, v9, v11
	v_lshl_or_b32 v11, v8, 12, v2
	v_cndmask_b32_e64 v9, 0, 1, vcc_lo
	s_delay_alu instid0(VALU_DEP_4) | instskip(SKIP_1) | instid1(VALU_DEP_3)
	v_cmp_ne_u32_e32 vcc_lo, v4, v12
	v_lshl_or_b32 v12, v10, 12, v6
	v_or_b32_e32 v9, v13, v9
	v_cndmask_b32_e64 v4, 0, 1, vcc_lo
	v_cmp_gt_i32_e32 vcc_lo, 1, v8
	s_delay_alu instid0(VALU_DEP_2) | instskip(NEXT) | instid1(VALU_DEP_4)
	v_or_b32_e32 v4, v14, v4
	v_cndmask_b32_e32 v9, v11, v9, vcc_lo
	v_cmp_gt_i32_e32 vcc_lo, 1, v10
	s_delay_alu instid0(VALU_DEP_2) | instskip(SKIP_2) | instid1(VALU_DEP_3)
	v_dual_cndmask_b32 v4, v12, v4 :: v_dual_and_b32 v11, 7, v9
	v_cmp_ne_u32_e32 vcc_lo, 0, v2
	v_lshrrev_b32_e32 v9, 2, v9
	v_cmp_eq_u32_e64 s0, 3, v11
	s_delay_alu instid0(VALU_DEP_4) | instskip(SKIP_3) | instid1(VALU_DEP_4)
	v_and_b32_e32 v12, 7, v4
	v_cndmask_b32_e64 v2, 0, 1, vcc_lo
	v_cmp_ne_u32_e32 vcc_lo, 0, v6
	v_lshrrev_b32_e32 v4, 2, v4
	v_cmp_lt_i32_e64 s1, 5, v12
	v_cmp_eq_u32_e64 s2, 3, v12
	v_cndmask_b32_e64 v6, 0, 1, vcc_lo
	v_cmp_lt_i32_e32 vcc_lo, 5, v11
	v_lshl_or_b32 v2, v2, 9, 0x7c00
	s_delay_alu instid0(VALU_DEP_3)
	v_lshl_or_b32 v6, v6, 9, 0x7c00
	s_or_b32 vcc_lo, s0, vcc_lo
	v_add_co_ci_u32_e32 v9, vcc_lo, 0, v9, vcc_lo
	s_or_b32 vcc_lo, s2, s1
	v_add_co_ci_u32_e32 v4, vcc_lo, 0, v4, vcc_lo
	v_cmp_gt_i32_e32 vcc_lo, 31, v8
	s_delay_alu instid0(VALU_DEP_3) | instskip(SKIP_1) | instid1(VALU_DEP_4)
	v_cndmask_b32_e32 v9, 0x7c00, v9, vcc_lo
	v_cmp_gt_i32_e32 vcc_lo, 31, v10
	v_cndmask_b32_e32 v4, 0x7c00, v4, vcc_lo
	v_cmp_eq_u32_e32 vcc_lo, 0x40f, v8
	s_delay_alu instid0(VALU_DEP_4) | instskip(SKIP_1) | instid1(VALU_DEP_2)
	v_cndmask_b32_e32 v2, v9, v2, vcc_lo
	v_cmp_eq_u32_e32 vcc_lo, 0x40f, v10
	v_and_or_b32 v2, 0x8000, v5, v2
	v_cndmask_b32_e32 v4, v4, v6, vcc_lo
	v_add_co_u32 v0, vcc_lo, v0, s4
	v_add_co_ci_u32_e32 v1, vcc_lo, s3, v1, vcc_lo
	s_delay_alu instid0(VALU_DEP_3) | instskip(SKIP_1) | instid1(VALU_DEP_1)
	v_and_or_b32 v4, 0x8000, v7, v4
	v_and_b32_e32 v2, 0xffff, v2
	v_lshl_or_b32 v2, v4, 16, v2
	v_lshrrev_b32_e32 v4, 16, v3
	global_store_b32 v[0:1], v2, off
	global_load_b32 v2, v36, s[12:13] offset:3696
	s_waitcnt vmcnt(0)
	v_lshrrev_b32_e32 v5, 16, v2
	s_delay_alu instid0(VALU_DEP_1) | instskip(SKIP_1) | instid1(VALU_DEP_2)
	v_mul_f16_e32 v6, v4, v5
	v_mul_f16_e32 v5, v3, v5
	v_fmac_f16_e32 v6, v3, v2
	s_delay_alu instid0(VALU_DEP_2) | instskip(NEXT) | instid1(VALU_DEP_2)
	v_fma_f16 v2, v2, v4, -v5
	v_cvt_f32_f16_e32 v3, v6
	s_delay_alu instid0(VALU_DEP_2) | instskip(NEXT) | instid1(VALU_DEP_2)
	v_cvt_f32_f16_e32 v4, v2
	v_cvt_f64_f32_e32 v[2:3], v3
	s_delay_alu instid0(VALU_DEP_2) | instskip(NEXT) | instid1(VALU_DEP_2)
	v_cvt_f64_f32_e32 v[4:5], v4
	v_mul_f64 v[2:3], v[2:3], s[8:9]
	s_delay_alu instid0(VALU_DEP_2) | instskip(NEXT) | instid1(VALU_DEP_2)
	v_mul_f64 v[4:5], v[4:5], s[8:9]
	v_and_or_b32 v2, 0x1ff, v3, v2
	s_delay_alu instid0(VALU_DEP_2)
	v_and_or_b32 v4, 0x1ff, v5, v4
	v_lshrrev_b32_e32 v6, 8, v3
	v_bfe_u32 v7, v3, 20, 11
	v_lshrrev_b32_e32 v8, 8, v5
	v_cmp_ne_u32_e32 vcc_lo, 0, v2
	v_bfe_u32 v9, v5, 20, 11
	v_lshrrev_b32_e32 v3, 16, v3
	v_sub_nc_u32_e32 v10, 0x3f1, v7
	v_add_nc_u32_e32 v7, 0xfffffc10, v7
	v_cndmask_b32_e64 v2, 0, 1, vcc_lo
	v_cmp_ne_u32_e32 vcc_lo, 0, v4
	v_lshrrev_b32_e32 v5, 16, v5
	s_delay_alu instid0(VALU_DEP_3) | instskip(SKIP_3) | instid1(VALU_DEP_3)
	v_and_or_b32 v2, 0xffe, v6, v2
	v_cndmask_b32_e64 v4, 0, 1, vcc_lo
	v_sub_nc_u32_e32 v6, 0x3f1, v9
	v_add_nc_u32_e32 v9, 0xfffffc10, v9
	v_and_or_b32 v4, 0xffe, v8, v4
	v_med3_i32 v8, v10, 0, 13
	v_or_b32_e32 v10, 0x1000, v2
	v_med3_i32 v6, v6, 0, 13
	s_delay_alu instid0(VALU_DEP_4) | instskip(NEXT) | instid1(VALU_DEP_3)
	v_or_b32_e32 v11, 0x1000, v4
	v_lshrrev_b32_e32 v12, v8, v10
	s_delay_alu instid0(VALU_DEP_2) | instskip(NEXT) | instid1(VALU_DEP_2)
	v_lshrrev_b32_e32 v13, v6, v11
	v_lshlrev_b32_e32 v8, v8, v12
	s_delay_alu instid0(VALU_DEP_2) | instskip(NEXT) | instid1(VALU_DEP_2)
	v_lshlrev_b32_e32 v6, v6, v13
	v_cmp_ne_u32_e32 vcc_lo, v8, v10
	v_lshl_or_b32 v10, v7, 12, v2
	v_cndmask_b32_e64 v8, 0, 1, vcc_lo
	s_delay_alu instid0(VALU_DEP_4) | instskip(SKIP_1) | instid1(VALU_DEP_3)
	v_cmp_ne_u32_e32 vcc_lo, v6, v11
	v_lshl_or_b32 v11, v9, 12, v4
	v_or_b32_e32 v8, v12, v8
	v_cndmask_b32_e64 v6, 0, 1, vcc_lo
	v_cmp_gt_i32_e32 vcc_lo, 1, v7
	s_delay_alu instid0(VALU_DEP_2) | instskip(NEXT) | instid1(VALU_DEP_4)
	v_or_b32_e32 v6, v13, v6
	v_cndmask_b32_e32 v8, v10, v8, vcc_lo
	v_cmp_gt_i32_e32 vcc_lo, 1, v9
	s_delay_alu instid0(VALU_DEP_2) | instskip(NEXT) | instid1(VALU_DEP_4)
	v_and_b32_e32 v10, 7, v8
	v_cndmask_b32_e32 v6, v11, v6, vcc_lo
	v_cmp_ne_u32_e32 vcc_lo, 0, v2
	v_lshrrev_b32_e32 v8, 2, v8
	s_delay_alu instid0(VALU_DEP_4) | instskip(NEXT) | instid1(VALU_DEP_4)
	v_cmp_eq_u32_e64 s0, 3, v10
	v_and_b32_e32 v11, 7, v6
	v_cndmask_b32_e64 v2, 0, 1, vcc_lo
	v_cmp_ne_u32_e32 vcc_lo, 0, v4
	v_lshrrev_b32_e32 v6, 2, v6
	s_delay_alu instid0(VALU_DEP_4) | instskip(SKIP_4) | instid1(VALU_DEP_3)
	v_cmp_lt_i32_e64 s1, 5, v11
	v_cmp_eq_u32_e64 s2, 3, v11
	v_cndmask_b32_e64 v4, 0, 1, vcc_lo
	v_cmp_lt_i32_e32 vcc_lo, 5, v10
	v_lshl_or_b32 v2, v2, 9, 0x7c00
	v_lshl_or_b32 v4, v4, 9, 0x7c00
	s_or_b32 vcc_lo, s0, vcc_lo
	v_add_co_ci_u32_e32 v8, vcc_lo, 0, v8, vcc_lo
	s_or_b32 vcc_lo, s2, s1
	v_add_co_ci_u32_e32 v6, vcc_lo, 0, v6, vcc_lo
	v_cmp_gt_i32_e32 vcc_lo, 31, v7
	s_delay_alu instid0(VALU_DEP_3) | instskip(SKIP_1) | instid1(VALU_DEP_4)
	v_cndmask_b32_e32 v8, 0x7c00, v8, vcc_lo
	v_cmp_gt_i32_e32 vcc_lo, 31, v9
	v_cndmask_b32_e32 v6, 0x7c00, v6, vcc_lo
	v_cmp_eq_u32_e32 vcc_lo, 0x40f, v7
	s_delay_alu instid0(VALU_DEP_4) | instskip(SKIP_1) | instid1(VALU_DEP_2)
	v_cndmask_b32_e32 v2, v8, v2, vcc_lo
	v_cmp_eq_u32_e32 vcc_lo, 0x40f, v9
	v_and_or_b32 v2, 0x8000, v3, v2
	v_cndmask_b32_e32 v4, v6, v4, vcc_lo
	v_add_co_u32 v0, vcc_lo, v0, s4
	v_add_co_ci_u32_e32 v1, vcc_lo, s3, v1, vcc_lo
	s_delay_alu instid0(VALU_DEP_3) | instskip(SKIP_1) | instid1(VALU_DEP_1)
	v_and_or_b32 v3, 0x8000, v5, v4
	v_and_b32_e32 v2, 0xffff, v2
	v_lshl_or_b32 v2, v3, 16, v2
	global_store_b32 v[0:1], v2, off
	global_load_b32 v4, v36, s[12:13] offset:3960
	v_add_nc_u32_e32 v2, 0xe00, v38
	ds_load_2addr_b32 v[2:3], v2 offset0:94 offset1:160
	s_waitcnt lgkmcnt(0)
	v_lshrrev_b32_e32 v5, 16, v2
	s_waitcnt vmcnt(0)
	v_lshrrev_b32_e32 v6, 16, v4
	s_delay_alu instid0(VALU_DEP_1) | instskip(SKIP_1) | instid1(VALU_DEP_2)
	v_mul_f16_e32 v7, v5, v6
	v_mul_f16_e32 v6, v2, v6
	v_fmac_f16_e32 v7, v2, v4
	s_delay_alu instid0(VALU_DEP_2) | instskip(NEXT) | instid1(VALU_DEP_2)
	v_fma_f16 v2, v4, v5, -v6
	v_cvt_f32_f16_e32 v4, v7
	s_delay_alu instid0(VALU_DEP_2) | instskip(NEXT) | instid1(VALU_DEP_2)
	v_cvt_f32_f16_e32 v2, v2
	v_cvt_f64_f32_e32 v[4:5], v4
	s_delay_alu instid0(VALU_DEP_2) | instskip(NEXT) | instid1(VALU_DEP_2)
	v_cvt_f64_f32_e32 v[6:7], v2
	v_mul_f64 v[4:5], v[4:5], s[8:9]
	s_delay_alu instid0(VALU_DEP_2) | instskip(NEXT) | instid1(VALU_DEP_2)
	v_mul_f64 v[6:7], v[6:7], s[8:9]
	v_and_or_b32 v2, 0x1ff, v5, v4
	s_delay_alu instid0(VALU_DEP_2)
	v_and_or_b32 v6, 0x1ff, v7, v6
	v_lshrrev_b32_e32 v4, 8, v5
	v_bfe_u32 v8, v5, 20, 11
	v_lshrrev_b32_e32 v9, 8, v7
	v_cmp_ne_u32_e32 vcc_lo, 0, v2
	v_bfe_u32 v10, v7, 20, 11
	v_lshrrev_b32_e32 v5, 16, v5
	v_sub_nc_u32_e32 v11, 0x3f1, v8
	v_add_nc_u32_e32 v8, 0xfffffc10, v8
	v_cndmask_b32_e64 v2, 0, 1, vcc_lo
	v_cmp_ne_u32_e32 vcc_lo, 0, v6
	v_lshrrev_b32_e32 v7, 16, v7
	s_delay_alu instid0(VALU_DEP_3) | instskip(SKIP_3) | instid1(VALU_DEP_3)
	v_and_or_b32 v2, 0xffe, v4, v2
	v_cndmask_b32_e64 v6, 0, 1, vcc_lo
	v_sub_nc_u32_e32 v4, 0x3f1, v10
	v_add_nc_u32_e32 v10, 0xfffffc10, v10
	v_and_or_b32 v6, 0xffe, v9, v6
	v_med3_i32 v9, v11, 0, 13
	v_or_b32_e32 v11, 0x1000, v2
	v_med3_i32 v4, v4, 0, 13
	s_delay_alu instid0(VALU_DEP_4) | instskip(NEXT) | instid1(VALU_DEP_3)
	v_or_b32_e32 v12, 0x1000, v6
	v_lshrrev_b32_e32 v13, v9, v11
	s_delay_alu instid0(VALU_DEP_2) | instskip(NEXT) | instid1(VALU_DEP_2)
	v_lshrrev_b32_e32 v14, v4, v12
	v_lshlrev_b32_e32 v9, v9, v13
	s_delay_alu instid0(VALU_DEP_2) | instskip(NEXT) | instid1(VALU_DEP_2)
	v_lshlrev_b32_e32 v4, v4, v14
	v_cmp_ne_u32_e32 vcc_lo, v9, v11
	v_lshl_or_b32 v11, v8, 12, v2
	v_cndmask_b32_e64 v9, 0, 1, vcc_lo
	s_delay_alu instid0(VALU_DEP_4) | instskip(SKIP_1) | instid1(VALU_DEP_3)
	v_cmp_ne_u32_e32 vcc_lo, v4, v12
	v_lshl_or_b32 v12, v10, 12, v6
	v_or_b32_e32 v9, v13, v9
	v_cndmask_b32_e64 v4, 0, 1, vcc_lo
	v_cmp_gt_i32_e32 vcc_lo, 1, v8
	s_delay_alu instid0(VALU_DEP_2) | instskip(NEXT) | instid1(VALU_DEP_4)
	v_or_b32_e32 v4, v14, v4
	v_cndmask_b32_e32 v9, v11, v9, vcc_lo
	v_cmp_gt_i32_e32 vcc_lo, 1, v10
	s_delay_alu instid0(VALU_DEP_2) | instskip(SKIP_2) | instid1(VALU_DEP_3)
	v_dual_cndmask_b32 v4, v12, v4 :: v_dual_and_b32 v11, 7, v9
	v_cmp_ne_u32_e32 vcc_lo, 0, v2
	v_lshrrev_b32_e32 v9, 2, v9
	v_cmp_eq_u32_e64 s0, 3, v11
	s_delay_alu instid0(VALU_DEP_4) | instskip(SKIP_3) | instid1(VALU_DEP_4)
	v_and_b32_e32 v12, 7, v4
	v_cndmask_b32_e64 v2, 0, 1, vcc_lo
	v_cmp_ne_u32_e32 vcc_lo, 0, v6
	v_lshrrev_b32_e32 v4, 2, v4
	v_cmp_lt_i32_e64 s1, 5, v12
	v_cmp_eq_u32_e64 s2, 3, v12
	v_cndmask_b32_e64 v6, 0, 1, vcc_lo
	v_cmp_lt_i32_e32 vcc_lo, 5, v11
	v_lshl_or_b32 v2, v2, 9, 0x7c00
	s_delay_alu instid0(VALU_DEP_3)
	v_lshl_or_b32 v6, v6, 9, 0x7c00
	s_or_b32 vcc_lo, s0, vcc_lo
	v_add_co_ci_u32_e32 v9, vcc_lo, 0, v9, vcc_lo
	s_or_b32 vcc_lo, s2, s1
	v_add_co_ci_u32_e32 v4, vcc_lo, 0, v4, vcc_lo
	v_cmp_gt_i32_e32 vcc_lo, 31, v8
	s_delay_alu instid0(VALU_DEP_3) | instskip(SKIP_1) | instid1(VALU_DEP_4)
	v_cndmask_b32_e32 v9, 0x7c00, v9, vcc_lo
	v_cmp_gt_i32_e32 vcc_lo, 31, v10
	v_cndmask_b32_e32 v4, 0x7c00, v4, vcc_lo
	v_cmp_eq_u32_e32 vcc_lo, 0x40f, v8
	s_delay_alu instid0(VALU_DEP_4) | instskip(SKIP_1) | instid1(VALU_DEP_2)
	v_cndmask_b32_e32 v2, v9, v2, vcc_lo
	v_cmp_eq_u32_e32 vcc_lo, 0x40f, v10
	v_and_or_b32 v2, 0x8000, v5, v2
	v_cndmask_b32_e32 v4, v4, v6, vcc_lo
	v_add_co_u32 v5, s0, s12, v36
	s_delay_alu instid0(VALU_DEP_1) | instskip(NEXT) | instid1(VALU_DEP_3)
	v_add_co_ci_u32_e64 v6, null, s13, 0, s0
	v_and_or_b32 v4, 0x8000, v7, v4
	v_and_b32_e32 v2, 0xffff, v2
	v_add_co_u32 v0, vcc_lo, v0, s4
	v_add_co_ci_u32_e32 v1, vcc_lo, s3, v1, vcc_lo
	s_delay_alu instid0(VALU_DEP_3)
	v_lshl_or_b32 v2, v4, 16, v2
	v_add_co_u32 v4, vcc_lo, 0x1000, v5
	v_add_co_ci_u32_e32 v5, vcc_lo, 0, v6, vcc_lo
	global_store_b32 v[0:1], v2, off
	global_load_b32 v2, v[4:5], off offset:128
	v_lshrrev_b32_e32 v4, 16, v3
	s_waitcnt vmcnt(0)
	v_lshrrev_b32_e32 v5, 16, v2
	s_delay_alu instid0(VALU_DEP_1) | instskip(SKIP_1) | instid1(VALU_DEP_2)
	v_mul_f16_e32 v6, v4, v5
	v_mul_f16_e32 v5, v3, v5
	v_fmac_f16_e32 v6, v3, v2
	s_delay_alu instid0(VALU_DEP_2) | instskip(NEXT) | instid1(VALU_DEP_2)
	v_fma_f16 v2, v2, v4, -v5
	v_cvt_f32_f16_e32 v3, v6
	s_delay_alu instid0(VALU_DEP_2) | instskip(NEXT) | instid1(VALU_DEP_2)
	v_cvt_f32_f16_e32 v4, v2
	v_cvt_f64_f32_e32 v[2:3], v3
	s_delay_alu instid0(VALU_DEP_2) | instskip(NEXT) | instid1(VALU_DEP_2)
	v_cvt_f64_f32_e32 v[4:5], v4
	v_mul_f64 v[2:3], v[2:3], s[8:9]
	s_delay_alu instid0(VALU_DEP_2) | instskip(NEXT) | instid1(VALU_DEP_2)
	v_mul_f64 v[4:5], v[4:5], s[8:9]
	v_and_or_b32 v2, 0x1ff, v3, v2
	s_delay_alu instid0(VALU_DEP_2)
	v_and_or_b32 v4, 0x1ff, v5, v4
	v_lshrrev_b32_e32 v6, 8, v3
	v_bfe_u32 v7, v3, 20, 11
	v_lshrrev_b32_e32 v8, 8, v5
	v_cmp_ne_u32_e32 vcc_lo, 0, v2
	v_bfe_u32 v9, v5, 20, 11
	v_lshrrev_b32_e32 v3, 16, v3
	v_sub_nc_u32_e32 v10, 0x3f1, v7
	v_add_nc_u32_e32 v7, 0xfffffc10, v7
	v_cndmask_b32_e64 v2, 0, 1, vcc_lo
	v_cmp_ne_u32_e32 vcc_lo, 0, v4
	v_lshrrev_b32_e32 v5, 16, v5
	s_delay_alu instid0(VALU_DEP_3) | instskip(SKIP_3) | instid1(VALU_DEP_3)
	v_and_or_b32 v2, 0xffe, v6, v2
	v_cndmask_b32_e64 v4, 0, 1, vcc_lo
	v_sub_nc_u32_e32 v6, 0x3f1, v9
	v_add_nc_u32_e32 v9, 0xfffffc10, v9
	v_and_or_b32 v4, 0xffe, v8, v4
	v_med3_i32 v8, v10, 0, 13
	v_or_b32_e32 v10, 0x1000, v2
	v_med3_i32 v6, v6, 0, 13
	s_delay_alu instid0(VALU_DEP_4) | instskip(NEXT) | instid1(VALU_DEP_3)
	v_or_b32_e32 v11, 0x1000, v4
	v_lshrrev_b32_e32 v12, v8, v10
	s_delay_alu instid0(VALU_DEP_2) | instskip(NEXT) | instid1(VALU_DEP_2)
	v_lshrrev_b32_e32 v13, v6, v11
	v_lshlrev_b32_e32 v8, v8, v12
	s_delay_alu instid0(VALU_DEP_2) | instskip(NEXT) | instid1(VALU_DEP_2)
	v_lshlrev_b32_e32 v6, v6, v13
	v_cmp_ne_u32_e32 vcc_lo, v8, v10
	v_lshl_or_b32 v10, v7, 12, v2
	v_cndmask_b32_e64 v8, 0, 1, vcc_lo
	s_delay_alu instid0(VALU_DEP_4) | instskip(SKIP_1) | instid1(VALU_DEP_3)
	v_cmp_ne_u32_e32 vcc_lo, v6, v11
	v_lshl_or_b32 v11, v9, 12, v4
	v_or_b32_e32 v8, v12, v8
	v_cndmask_b32_e64 v6, 0, 1, vcc_lo
	v_cmp_gt_i32_e32 vcc_lo, 1, v7
	s_delay_alu instid0(VALU_DEP_2) | instskip(NEXT) | instid1(VALU_DEP_4)
	v_or_b32_e32 v6, v13, v6
	v_cndmask_b32_e32 v8, v10, v8, vcc_lo
	v_cmp_gt_i32_e32 vcc_lo, 1, v9
	s_delay_alu instid0(VALU_DEP_2) | instskip(NEXT) | instid1(VALU_DEP_4)
	v_and_b32_e32 v10, 7, v8
	v_cndmask_b32_e32 v6, v11, v6, vcc_lo
	v_cmp_ne_u32_e32 vcc_lo, 0, v2
	v_lshrrev_b32_e32 v8, 2, v8
	s_delay_alu instid0(VALU_DEP_4) | instskip(NEXT) | instid1(VALU_DEP_4)
	v_cmp_eq_u32_e64 s0, 3, v10
	v_and_b32_e32 v11, 7, v6
	v_cndmask_b32_e64 v2, 0, 1, vcc_lo
	v_cmp_ne_u32_e32 vcc_lo, 0, v4
	v_lshrrev_b32_e32 v6, 2, v6
	s_delay_alu instid0(VALU_DEP_4) | instskip(SKIP_4) | instid1(VALU_DEP_3)
	v_cmp_lt_i32_e64 s1, 5, v11
	v_cmp_eq_u32_e64 s2, 3, v11
	v_cndmask_b32_e64 v4, 0, 1, vcc_lo
	v_cmp_lt_i32_e32 vcc_lo, 5, v10
	v_lshl_or_b32 v2, v2, 9, 0x7c00
	v_lshl_or_b32 v4, v4, 9, 0x7c00
	s_or_b32 vcc_lo, s0, vcc_lo
	v_add_co_ci_u32_e32 v8, vcc_lo, 0, v8, vcc_lo
	s_or_b32 vcc_lo, s2, s1
	v_add_co_ci_u32_e32 v6, vcc_lo, 0, v6, vcc_lo
	v_cmp_gt_i32_e32 vcc_lo, 31, v7
	s_delay_alu instid0(VALU_DEP_3) | instskip(SKIP_1) | instid1(VALU_DEP_4)
	v_cndmask_b32_e32 v8, 0x7c00, v8, vcc_lo
	v_cmp_gt_i32_e32 vcc_lo, 31, v9
	v_cndmask_b32_e32 v6, 0x7c00, v6, vcc_lo
	v_cmp_eq_u32_e32 vcc_lo, 0x40f, v7
	s_delay_alu instid0(VALU_DEP_4) | instskip(SKIP_1) | instid1(VALU_DEP_2)
	v_cndmask_b32_e32 v2, v8, v2, vcc_lo
	v_cmp_eq_u32_e32 vcc_lo, 0x40f, v9
	v_and_or_b32 v2, 0x8000, v3, v2
	v_cndmask_b32_e32 v4, v6, v4, vcc_lo
	v_add_co_u32 v0, vcc_lo, v0, s4
	v_add_co_ci_u32_e32 v1, vcc_lo, s3, v1, vcc_lo
	s_delay_alu instid0(VALU_DEP_3) | instskip(SKIP_1) | instid1(VALU_DEP_1)
	v_and_or_b32 v3, 0x8000, v5, v4
	v_and_b32_e32 v2, 0xffff, v2
	v_lshl_or_b32 v2, v3, 16, v2
	global_store_b32 v[0:1], v2, off
.LBB0_23:
	s_nop 0
	s_sendmsg sendmsg(MSG_DEALLOC_VGPRS)
	s_endpgm
	.section	.rodata,"a",@progbits
	.p2align	6, 0x0
	.amdhsa_kernel bluestein_single_back_len1122_dim1_half_op_CI_CI
		.amdhsa_group_segment_fixed_size 8976
		.amdhsa_private_segment_fixed_size 0
		.amdhsa_kernarg_size 104
		.amdhsa_user_sgpr_count 15
		.amdhsa_user_sgpr_dispatch_ptr 0
		.amdhsa_user_sgpr_queue_ptr 0
		.amdhsa_user_sgpr_kernarg_segment_ptr 1
		.amdhsa_user_sgpr_dispatch_id 0
		.amdhsa_user_sgpr_private_segment_size 0
		.amdhsa_wavefront_size32 1
		.amdhsa_uses_dynamic_stack 0
		.amdhsa_enable_private_segment 0
		.amdhsa_system_sgpr_workgroup_id_x 1
		.amdhsa_system_sgpr_workgroup_id_y 0
		.amdhsa_system_sgpr_workgroup_id_z 0
		.amdhsa_system_sgpr_workgroup_info 0
		.amdhsa_system_vgpr_workitem_id 0
		.amdhsa_next_free_vgpr 231
		.amdhsa_next_free_sgpr 16
		.amdhsa_reserve_vcc 1
		.amdhsa_float_round_mode_32 0
		.amdhsa_float_round_mode_16_64 0
		.amdhsa_float_denorm_mode_32 3
		.amdhsa_float_denorm_mode_16_64 3
		.amdhsa_dx10_clamp 1
		.amdhsa_ieee_mode 1
		.amdhsa_fp16_overflow 0
		.amdhsa_workgroup_processor_mode 1
		.amdhsa_memory_ordered 1
		.amdhsa_forward_progress 0
		.amdhsa_shared_vgpr_count 0
		.amdhsa_exception_fp_ieee_invalid_op 0
		.amdhsa_exception_fp_denorm_src 0
		.amdhsa_exception_fp_ieee_div_zero 0
		.amdhsa_exception_fp_ieee_overflow 0
		.amdhsa_exception_fp_ieee_underflow 0
		.amdhsa_exception_fp_ieee_inexact 0
		.amdhsa_exception_int_div_zero 0
	.end_amdhsa_kernel
	.text
.Lfunc_end0:
	.size	bluestein_single_back_len1122_dim1_half_op_CI_CI, .Lfunc_end0-bluestein_single_back_len1122_dim1_half_op_CI_CI
                                        ; -- End function
	.section	.AMDGPU.csdata,"",@progbits
; Kernel info:
; codeLenInByte = 34516
; NumSgprs: 18
; NumVgprs: 231
; ScratchSize: 0
; MemoryBound: 0
; FloatMode: 240
; IeeeMode: 1
; LDSByteSize: 8976 bytes/workgroup (compile time only)
; SGPRBlocks: 2
; VGPRBlocks: 28
; NumSGPRsForWavesPerEU: 18
; NumVGPRsForWavesPerEU: 231
; Occupancy: 6
; WaveLimiterHint : 1
; COMPUTE_PGM_RSRC2:SCRATCH_EN: 0
; COMPUTE_PGM_RSRC2:USER_SGPR: 15
; COMPUTE_PGM_RSRC2:TRAP_HANDLER: 0
; COMPUTE_PGM_RSRC2:TGID_X_EN: 1
; COMPUTE_PGM_RSRC2:TGID_Y_EN: 0
; COMPUTE_PGM_RSRC2:TGID_Z_EN: 0
; COMPUTE_PGM_RSRC2:TIDIG_COMP_CNT: 0
	.text
	.p2alignl 7, 3214868480
	.fill 96, 4, 3214868480
	.type	__hip_cuid_ce027f3ec82d1430,@object ; @__hip_cuid_ce027f3ec82d1430
	.section	.bss,"aw",@nobits
	.globl	__hip_cuid_ce027f3ec82d1430
__hip_cuid_ce027f3ec82d1430:
	.byte	0                               ; 0x0
	.size	__hip_cuid_ce027f3ec82d1430, 1

	.ident	"AMD clang version 19.0.0git (https://github.com/RadeonOpenCompute/llvm-project roc-6.4.0 25133 c7fe45cf4b819c5991fe208aaa96edf142730f1d)"
	.section	".note.GNU-stack","",@progbits
	.addrsig
	.addrsig_sym __hip_cuid_ce027f3ec82d1430
	.amdgpu_metadata
---
amdhsa.kernels:
  - .args:
      - .actual_access:  read_only
        .address_space:  global
        .offset:         0
        .size:           8
        .value_kind:     global_buffer
      - .actual_access:  read_only
        .address_space:  global
        .offset:         8
        .size:           8
        .value_kind:     global_buffer
      - .actual_access:  read_only
        .address_space:  global
        .offset:         16
        .size:           8
        .value_kind:     global_buffer
      - .actual_access:  read_only
        .address_space:  global
        .offset:         24
        .size:           8
        .value_kind:     global_buffer
      - .actual_access:  read_only
        .address_space:  global
        .offset:         32
        .size:           8
        .value_kind:     global_buffer
      - .offset:         40
        .size:           8
        .value_kind:     by_value
      - .address_space:  global
        .offset:         48
        .size:           8
        .value_kind:     global_buffer
      - .address_space:  global
        .offset:         56
        .size:           8
        .value_kind:     global_buffer
      - .address_space:  global
        .offset:         64
        .size:           8
        .value_kind:     global_buffer
      - .address_space:  global
        .offset:         72
        .size:           8
        .value_kind:     global_buffer
      - .offset:         80
        .size:           4
        .value_kind:     by_value
      - .address_space:  global
        .offset:         88
        .size:           8
        .value_kind:     global_buffer
      - .address_space:  global
        .offset:         96
        .size:           8
        .value_kind:     global_buffer
    .group_segment_fixed_size: 8976
    .kernarg_segment_align: 8
    .kernarg_segment_size: 104
    .language:       OpenCL C
    .language_version:
      - 2
      - 0
    .max_flat_workgroup_size: 204
    .name:           bluestein_single_back_len1122_dim1_half_op_CI_CI
    .private_segment_fixed_size: 0
    .sgpr_count:     18
    .sgpr_spill_count: 0
    .symbol:         bluestein_single_back_len1122_dim1_half_op_CI_CI.kd
    .uniform_work_group_size: 1
    .uses_dynamic_stack: false
    .vgpr_count:     231
    .vgpr_spill_count: 0
    .wavefront_size: 32
    .workgroup_processor_mode: 1
amdhsa.target:   amdgcn-amd-amdhsa--gfx1100
amdhsa.version:
  - 1
  - 2
...

	.end_amdgpu_metadata
